;; amdgpu-corpus repo=ROCm/aiter kind=harvested arch=n/a opt=n/a

/root/src/amdgpu-assembly/repos/ROCm__aiter/hsa/gfx950/pa/pa_fp16_pertokenInt8_gqa8_1tg_4w_mtp_msk0.co:	file format elf64-amdgpu

Disassembly of section .text:

0000000000002200 <_ZN5aiter41pa_fp16_pertokenInt8_gqa8_1tg_4w_mtp_msk0E>:
	s_and_b32 s1, s1, 0xffff                                   // 000000002200: 8601FF01 0000FFFF
	s_load_dwordx2 s[8:9], s[0:1], 0x0                         // 000000002208: C0060200 00000000
	s_load_dwordx2 s[12:13], s[0:1], 0x10                      // 000000002210: C0060300 00000010
	s_load_dwordx2 s[16:17], s[0:1], 0x20                      // 000000002218: C0060400 00000020
	s_load_dwordx2 s[20:21], s[0:1], 0x30                      // 000000002220: C0060500 00000030
	s_load_dwordx2 s[24:25], s[0:1], 0x40                      // 000000002228: C0060600 00000040
	s_load_dwordx2 s[28:29], s[0:1], 0x50                      // 000000002230: C0060700 00000050
	s_load_dwordx2 s[32:33], s[0:1], 0x60                      // 000000002238: C0060800 00000060
	s_load_dwordx2 s[36:37], s[0:1], 0x70                      // 000000002240: C0060900 00000070
	s_load_dword s64, s[0:1], 0x80                             // 000000002248: C0021000 00000080
	s_load_dword s65, s[0:1], 0x90                             // 000000002250: C0021040 00000090
	s_load_dword s66, s[0:1], 0xa0                             // 000000002258: C0021080 000000A0
	s_load_dword s74, s[0:1], 0xb0                             // 000000002260: C0021280 000000B0
	s_load_dword s68, s[0:1], 0xc0                             // 000000002268: C0021100 000000C0
	s_load_dword s69, s[0:1], 0xd0                             // 000000002270: C0021140 000000D0
	s_load_dword s77, s[0:1], 0xe0                             // 000000002278: C0021340 000000E0
	s_load_dwordx2 s[80:81], s[0:1], 0xf0                      // 000000002280: C0061400 000000F0
	v_lshrrev_b32_e32 v1, 10, v0                               // 000000002288: 2002008A
	v_lshrrev_b32_e32 v2, 10, v1                               // 00000000228C: 2004028A
	v_and_b32_e32 v2, 0x3ff, v2                                // 000000002290: 260404FF 000003FF
	v_and_b32_e32 v1, 0x3ff, v1                                // 000000002298: 260202FF 000003FF
	v_and_b32_e32 v0, 0x3ff, v0                                // 0000000022A0: 260000FF 000003FF
	v_lshrrev_b32_e32 v3, 6, v0                                // 0000000022A8: 20060086
	v_and_b32_e32 v0, 63, v0                                   // 0000000022AC: 260000BF
	s_mov_b32 s2, s2                                           // 0000000022B0: BE820002
	s_mov_b32 s3, s3                                           // 0000000022B4: BE830003
	s_mov_b32 s4, s4                                           // 0000000022B8: BE840004
	v_readfirstlane_b32 s7, v3                                 // 0000000022BC: 7E0E0503
	s_waitcnt lgkmcnt(0)                                       // 0000000022C0: BF8CC07F
	s_mul_i32 s67, 0x100, s77                                  // 0000000022C4: 92434DFF 00000100
	s_mul_i32 s76, 0x100, s77                                  // 0000000022CC: 924C4DFF 00000100
	s_mul_i32 s75, s66, s76                                    // 0000000022D4: 924B4C42
	s_mul_i32 s60, s3, 4                                       // 0000000022D8: 923C8403
	s_and_b32 s29, s29, 0xffff                                 // 0000000022DC: 861DFF1D 0000FFFF
	s_add_u32 s28, s60, s28                                    // 0000000022E4: 801C1C3C
	s_addc_u32 s29, 0, s29                                     // 0000000022E8: 821D1D80
	s_load_dword s72, s[28:29], 0x0                            // 0000000022EC: C002120E 00000000
	s_mul_i32 s60, s3, 4                                       // 0000000022F4: 923C8403
	s_and_b32 s81, s81, 0xffff                                 // 0000000022F8: 8651FF51 0000FFFF
	s_add_u32 s80, s60, s80                                    // 000000002300: 8050503C
	s_addc_u32 s81, 0, s81                                     // 000000002304: 82515180
	s_load_dword s84, s[80:81], 0x0                            // 000000002308: C0021528 00000000
	s_load_dword s85, s[80:81], 0x4                            // 000000002310: C0021568 00000004
	s_mov_b32 s10, s76                                         // 000000002318: BE8A004C
	s_mov_b32 s14, s67                                         // 00000000231C: BE8E0043
	s_mul_i32 s60, 4, s65                                      // 000000002320: 923C4184
	s_mov_b32 s26, s60                                         // 000000002324: BE9A003C
	s_mov_b32 s34, 0x80000000                                  // 000000002328: BEA200FF 80000000
	s_mov_b32 s38, 0x80000000                                  // 000000002330: BEA600FF 80000000
	s_mov_b32 s18, 0x80000000                                  // 000000002338: BE9200FF 80000000
	s_mov_b32 s22, 0x80000000                                  // 000000002340: BE9600FF 80000000
	s_mov_b32 s11, 0x20000                                     // 000000002348: BE8B00FF 00020000
	s_mov_b32 s15, 0x20000                                     // 000000002350: BE8F00FF 00020000
	s_mov_b32 s19, 0x20000                                     // 000000002358: BE9300FF 00020000
	s_mov_b32 s23, 0x20000                                     // 000000002360: BE9700FF 00020000
	s_mov_b32 s27, 0x20000                                     // 000000002368: BE9B00FF 00020000
	s_mov_b32 s35, 0x20000                                     // 000000002370: BEA300FF 00020000
	s_mov_b32 s39, 0x20000                                     // 000000002378: BEA700FF 00020000
	s_and_b32 s9, s9, 0xffff                                   // 000000002380: 8609FF09 0000FFFF
	s_and_b32 s13, s13, 0xffff                                 // 000000002388: 860DFF0D 0000FFFF
	s_and_b32 s17, s17, 0xffff                                 // 000000002390: 8611FF11 0000FFFF
	s_and_b32 s21, s21, 0xffff                                 // 000000002398: 8615FF15 0000FFFF
	s_and_b32 s25, s25, 0xffff                                 // 0000000023A0: 8619FF19 0000FFFF
	s_and_b32 s33, s33, 0xffff                                 // 0000000023A8: 8621FF21 0000FFFF
	s_and_b32 s37, s37, 0xffff                                 // 0000000023B0: 8625FF25 0000FFFF
	s_or_b32 s9, s9, 0x40000                                   // 0000000023B8: 8709FF09 00040000
	s_or_b32 s13, s13, 0x40000                                 // 0000000023C0: 870DFF0D 00040000
	s_or_b32 s17, s17, 0x40000                                 // 0000000023C8: 8711FF11 00040000
	s_or_b32 s21, s21, 0x40000                                 // 0000000023D0: 8715FF15 00040000
	s_or_b32 s25, s25, 0x40000                                 // 0000000023D8: 8719FF19 00040000
	s_or_b32 s33, s33, 0x40000                                 // 0000000023E0: 8721FF21 00040000
	s_or_b32 s37, s37, 0x40000                                 // 0000000023E8: 8725FF25 00040000
	v_accvgpr_write_b32 a127, 0                                // 0000000023F0: D3D9407F 18000080
	v_mov_b32_e32 v255, 0                                      // 0000000023F8: 7FFE0280
	s_mov_b32 s88, 0                                           // 0000000023FC: BED80080
	s_waitcnt lgkmcnt(0)                                       // 000000002400: BF8CC07F
	s_sub_u32 s86, s85, s84                                    // 000000002404: 80D65455
	s_mov_b32 s60, 2                                           // 000000002408: BEBC0082
	s_cmp_eq_i32 s60, s86                                      // 00000000240C: BF00563C
	s_cbranch_scc1 label_0E65                                  // 000000002410: BF850DE0
	s_mov_b32 s60, 3                                           // 000000002414: BEBC0083
	s_cmp_eq_i32 s60, s86                                      // 000000002418: BF00563C
	s_cbranch_scc1 label_1FF2                                  // 00000000241C: BF851F6A
	s_mov_b32 s60, 4                                           // 000000002420: BEBC0084
	s_cmp_eq_i32 s60, s86                                      // 000000002424: BF00563C
	s_cbranch_scc1 label_1FF4                                  // 000000002428: BF851F69
	s_mul_i32 s60, s3, s65                                     // 00000000242C: 923C4103
	s_mul_i32 s60, s60, 4                                      // 000000002430: 923C843C
	s_add_u32 s24, s60, s24                                    // 000000002434: 8018183C
	s_addc_u32 s25, 0, s25                                     // 000000002438: 82191980
	s_mov_b32 s56, 64                                          // 00000000243C: BEB800C0
	s_add_u32 s73, s72, 15                                     // 000000002440: 80498F48
	s_lshr_b32 s73, s73, 4                                     // 000000002444: 8F498449
	s_mul_i32 s60, s73, 4                                      // 000000002448: 923C8449
	s_mov_b32 s26, s60                                         // 00000000244C: BE9A003C
	v_and_b32_e32 v42, 3, v0                                   // 000000002450: 26540083
	v_cmp_eq_u32_e64 s[60:61], 0, v42                          // 000000002454: D0CA003C 00025480
	v_and_b32_e32 v41, 12, v0                                  // 00000000245C: 2652008C
	v_add_u32_e32 v1, s7, v41                                  // 000000002460: 68025207
	v_cndmask_b32_e64 v1, 0, v1, s[60:61]                      // 000000002464: D1000001 00F20280
	v_and_b32_e32 v42, 3, v0                                   // 00000000246C: 26540083
	v_cmp_eq_u32_e64 s[60:61], 1, v42                          // 000000002470: D0CA003C 00025481
	v_lshrrev_b32_e32 v41, 4, v0                               // 000000002478: 20520084
	v_and_b32_e32 v42, 12, v0                                  // 00000000247C: 2654008C
	v_add_u32_e32 v41, v42, v41                                // 000000002480: 6852532A
	v_cndmask_b32_e64 v41, 0, v41, s[60:61]                    // 000000002484: D1000029 00F25280
	v_add_u32_e32 v1, v1, v41                                  // 00000000248C: 68025301
	v_lshlrev_b32_e32 v1, 2, v1                                // 000000002490: 24020282
	buffer_load_dword v19, v1, s[24:27], 0 offen               // 000000002494: E0501000 80061301
	v_add_u32_e32 v1, s56, v1                                  // 00000000249C: 68020238
	buffer_load_dword v20, v1, s[24:27], 0 offen               // 0000000024A0: E0501000 80061401
	s_cmp_le_u32 s73, 32                                       // 0000000024A8: BF0BA049
	s_cselect_b32 s56, 0, s56                                  // 0000000024AC: 85383880
	s_mul_i32 s60, s2, s67                                     // 0000000024B0: 923C4302
	s_mul_i32 s61, s84, s74                                    // 0000000024B4: 923D4A54
	s_add_u32 s60, s60, s61                                    // 0000000024B8: 803C3D3C
	s_add_u32 s12, s60, s12                                    // 0000000024BC: 800C0C3C
	s_addc_u32 s13, 0, s13                                     // 0000000024C0: 820D0D80
	s_mul_i32 s60, s7, 0x108                                   // 0000000024C4: 923CFF07 00000108
	s_add_u32 m0, 0, s60                                       // 0000000024CC: 807C3C80
	s_mul_i32 s60, s7, 0x100                                   // 0000000024D0: 923CFF07 00000100
	v_lshlrev_b32_e32 v41, 2, v0                               // 0000000024D8: 24520082
	v_add_u32_e64 v41, v41, s60                                // 0000000024DC: D1340029 00007929
	buffer_load_dword v41, s[12:15], 0 offen lds               // 0000000024E4: E0511000 80030029
	s_mul_i32 s60, 4, 0x108                                    // 0000000024EC: 923CFF84 00000108
	s_add_u32 m0, m0, s60                                      // 0000000024F4: 807C3C7C
	v_add_u32_e32 v41, 0x400, v41                              // 0000000024F8: 685252FF 00000400
	buffer_load_dword v41, s[12:15], 0 offen lds               // 000000002500: E0511000 80030029
	s_mul_i32 s60, 4, 0x108                                    // 000000002508: 923CFF84 00000108
	s_add_u32 m0, m0, s60                                      // 000000002510: 807C3C7C
	v_add_u32_e32 v41, 0x400, v41                              // 000000002514: 685252FF 00000400
	s_mul_i32 s60, s7, 0x108                                   // 00000000251C: 923CFF07 00000108
	v_lshlrev_b32_e32 v41, 2, v0                               // 000000002524: 24520082
	v_add_u32_e64 v41, v41, s60                                // 000000002528: D1340029 00007929
	v_mov_b32_e32 v42, 0                                       // 000000002530: 7E540280
	ds_write_b32 v41, v42 offset:2112                          // 000000002534: D81A0840 00002A29
	ds_write_b32 v41, v42 offset:3168                          // 00000000253C: D81A0C60 00002A29
	v_lshrrev_b32_e32 v41, 4, v0                               // 000000002544: 20520084
	v_lshlrev_b32_e32 v41, 2, v41                              // 000000002548: 24525282
	v_and_b32_e32 v42, 3, v0                                   // 00000000254C: 26540083
	v_add_u32_e32 v41, v42, v41                                // 000000002550: 6852532A
	v_lshlrev_b32_e32 v74, 2, v41                              // 000000002554: 24945282
	v_mov_b32_e32 v75, v74                                     // 000000002558: 7E96034A
	s_mul_i32 s60, s2, 64                                      // 00000000255C: 923CC002
	s_add_u32 s32, s60, s32                                    // 000000002560: 8020203C
	s_addc_u32 s33, 0, s33                                     // 000000002564: 82212180
	s_add_u32 s36, s60, s36                                    // 000000002568: 8024243C
	s_addc_u32 s37, 0, s37                                     // 00000000256C: 82252580
	s_mul_i32 s60, s2, s76                                     // 000000002570: 923C4C02
	s_mul_i32 s61, s84, s75                                    // 000000002574: 923D4B54
	s_add_u32 s60, s60, s61                                    // 000000002578: 803C3D3C
	s_add_u32 s8, s60, s8                                      // 00000000257C: 8008083C
	s_addc_u32 s9, 0, s9                                       // 000000002580: 82090980
	s_mul_i32 s60, s7, 0x100                                   // 000000002584: 923CFF07 00000100
	v_lshlrev_b32_e32 v8, 2, v0                                // 00000000258C: 24100082
	v_add_u32_e64 v8, v8, s60                                  // 000000002590: D1340008 00007908
	s_mov_b32 s70, 0                                           // 000000002598: BEC60080
	s_and_b32 s71, s72, 0xffffff00                             // 00000000259C: 8647FF48 FFFFFF00
	s_mov_b32 s42, 0xff00ff00                                  // 0000000025A4: BEAA00FF FF00FF00
	s_mov_b32 s43, 0xff00ff00                                  // 0000000025AC: BEAB00FF FF00FF00
	s_mov_b32 s44, 0xf0f0f0f0                                  // 0000000025B4: BEAC00FF F0F0F0F0
	s_mov_b32 s45, 0xf0f0f0f0                                  // 0000000025BC: BEAD00FF F0F0F0F0
	v_mul_i32_i24_e64 v78, 64, s66                             // 0000000025C4: D106004E 000084C0
	v_mov_b32_e32 v68, s68                                     // 0000000025CC: 7E880244
	v_mov_b32_e32 v9, -1                                       // 0000000025D0: 7E1202C1
	s_mov_b32 s52, 0x7060302                                   // 0000000025D4: BEB400FF 07060302
	s_mov_b32 s53, 0x400                                       // 0000000025DC: BEB500FF 00000400
	s_mov_b32 s54, 0x40100                                     // 0000000025E4: BEB600FF 00040100
	s_mov_b32 s55, 0x4020100                                   // 0000000025EC: BEB700FF 04020100
	v_mov_b32_dpp v9, v9 row_shl:8 row_mask:0xf bank_mask:0xf bound_ctrl:1// 0000000025F4: 7E1202FA FF090809
	s_mov_b32 s6, 0x3fb8aa3b                                   // 0000000025FC: BE8600FF 3FB8AA3B
	v_mov_b32_e32 v14, 0xff800000                              // 000000002604: 7E1C02FF FF800000
	v_mov_b32_e32 v69, 0xff800000                              // 00000000260C: 7E8A02FF FF800000
	v_mov_b32_e32 v63, 0                                       // 000000002614: 7E7E0280
	v_mov_b32_e32 v47, 0                                       // 000000002618: 7E5E0280
	v_mov_b32_e32 v58, 0                                       // 00000000261C: 7E740280
	v_mov_b32_e32 v22, 0xffff0000                              // 000000002620: 7E2C02FF FFFF0000
	v_mov_b32_e32 v23, 0x7fff0000                              // 000000002628: 7E2E02FF 7FFF0000
	v_mov_b32_e32 v24, 0x7fff                                  // 000000002630: 7E3002FF 00007FFF
	v_add_u32_e32 v1, s56, v1                                  // 000000002638: 68020238
	v_and_b32_e32 v10, 15, v0                                  // 00000000263C: 2614008F
	v_lshlrev_b32_e32 v10, 2, v10                              // 000000002640: 24141482
	v_lshlrev_b32_e32 v11, 2, v0                               // 000000002644: 24160082
	s_mul_i32 s60, 0x100, s7                                   // 000000002648: 923C07FF 00000100
	v_add_u32_e32 v11, s60, v11                                // 000000002650: 6816163C
	v_lshrrev_b32_e32 v41, 4, v0                               // 000000002654: 20520084
	v_lshlrev_b32_e32 v42, 6, v41                              // 000000002658: 24545286
	v_and_b32_e32 v41, 15, v0                                  // 00000000265C: 2652008F
	v_lshlrev_b32_e32 v41, 1, v41                              // 000000002660: 24525281
	v_add_u32_e32 v42, v41, v42                                // 000000002664: 68545529
	v_lshlrev_b32_e32 v12, 2, v42                              // 000000002668: 24185482
	v_lshrrev_b32_e32 v41, 5, v0                               // 00000000266C: 20520085
	v_lshlrev_b32_e32 v42, 5, v41                              // 000000002670: 24545285
	v_and_b32_e32 v41, 31, v0                                  // 000000002674: 2652009F
	v_lshrrev_b32_e32 v43, 4, v41                              // 000000002678: 20565284
	v_add_u32_e32 v42, v43, v42                                // 00000000267C: 6854552B
	v_and_b32_e32 v41, 15, v0                                  // 000000002680: 2652008F
	v_lshlrev_b32_e32 v41, 1, v41                              // 000000002684: 24525281
	v_add_u32_e32 v42, v41, v42                                // 000000002688: 68545529
	v_lshlrev_b32_e32 v41, 2, v42                              // 00000000268C: 24525482
	s_mul_i32 s60, 0x100, s7                                   // 000000002690: 923C07FF 00000100
	v_add_u32_e64 v13, v41, s60                                // 000000002698: D134000D 00007929
	v_lshlrev_b32_e32 v6, 4, v0                                // 0000000026A0: 240C0084
	s_mul_i32 s60, s2, s69                                     // 0000000026A4: 923C4502
	s_add_u32 s16, s60, s16                                    // 0000000026A8: 8010103C
	s_addc_u32 s17, 0, s17                                     // 0000000026AC: 82111180
	v_and_b32_e32 v41, 15, v0                                  // 0000000026B0: 2652008F
	v_lshlrev_b32_e32 v7, 4, v41                               // 0000000026B4: 240E5284
	s_mul_i32 s61, s2, s69                                     // 0000000026B8: 923D4502
	s_mul_i32 s60, s7, 0x100                                   // 0000000026BC: 923CFF07 00000100
	s_add_u32 s60, s60, s61                                    // 0000000026C4: 803C3D3C
	s_add_u32 s20, s60, s20                                    // 0000000026C8: 8014143C
	s_addc_u32 s21, 0, s21                                     // 0000000026CC: 82151580
	s_waitcnt vmcnt(2)                                         // 0000000026D0: BF8C0F72
	v_mul_u32_u24_dpp v41, v19, v68 row_newbcast:0 row_mask:0xf bank_mask:0xf// 0000000026D4: 105288FA FF015013
	v_mul_u32_u24_dpp v42, v19, v68 row_newbcast:4 row_mask:0xf bank_mask:0xf// 0000000026DC: 105488FA FF015413
	v_mul_u32_u24_dpp v43, v19, v68 row_newbcast:8 row_mask:0xf bank_mask:0xf// 0000000026E4: 105688FA FF015813
	v_mul_u32_u24_dpp v44, v19, v68 row_newbcast:12 row_mask:0xf bank_mask:0xf// 0000000026EC: 105888FA FF015C13
	v_add_u32_e32 v25, v41, v6                                 // 0000000026F4: 68320D29
	v_add_u32_e32 v26, v42, v6                                 // 0000000026F8: 68340D2A
	v_add_u32_e32 v27, v43, v6                                 // 0000000026FC: 68360D2B
	v_add_u32_e32 v28, v44, v6                                 // 000000002700: 68380D2C
	v_mul_u32_u24_dpp v41, v19, v68 row_newbcast:1 row_mask:0xf bank_mask:0xf// 000000002704: 105288FA FF015113
	v_mul_u32_u24_dpp v42, v19, v68 row_newbcast:5 row_mask:0xf bank_mask:0xf// 00000000270C: 105488FA FF015513
	v_mul_u32_u24_dpp v43, v19, v68 row_newbcast:9 row_mask:0xf bank_mask:0xf// 000000002714: 105688FA FF015913
	v_mul_u32_u24_dpp v44, v19, v68 row_newbcast:13 row_mask:0xf bank_mask:0xf// 00000000271C: 105888FA FF015D13
	v_add_u32_e32 v33, v41, v7                                 // 000000002724: 68420F29
	v_add_u32_e32 v34, v42, v7                                 // 000000002728: 68440F2A
	v_add_u32_e32 v35, v43, v7                                 // 00000000272C: 68460F2B
	v_add_u32_e32 v36, v44, v7                                 // 000000002730: 68480F2C
	v_mul_u32_u24_dpp v41, v19, v78 quad_perm:[0,0,0,0] row_mask:0xf bank_mask:0xf// 000000002734: 10529CFA FF000013
	v_add_u32_e32 v2, v41, v74                                 // 00000000273C: 68049529
	v_mul_u32_u24_dpp v41, v19, v78 quad_perm:[0,0,0,0] row_mask:0xf bank_mask:0xf// 000000002740: 10529CFA FF000013
	v_add_u32_e32 v70, v41, v75                                // 000000002748: 688C9729
	buffer_load_dword v52, v2, s[32:35], 0 offen               // 00000000274C: E0501000 80083402
	buffer_load_dwordx4 a[0:3], v25, s[16:19], 0 offen         // 000000002754: E05C1000 80840019
	buffer_load_dwordx4 a[4:7], v25, s[16:19], 0 offen offset:1024// 00000000275C: E05C1400 80840419
	buffer_load_dwordx4 a[8:11], v26, s[16:19], 0 offen        // 000000002764: E05C1000 8084081A
	buffer_load_dwordx4 a[12:15], v26, s[16:19], 0 offen offset:1024// 00000000276C: E05C1400 80840C1A
	buffer_load_dwordx4 a[16:19], v27, s[16:19], 0 offen       // 000000002774: E05C1000 8084101B
	buffer_load_dwordx4 a[20:23], v27, s[16:19], 0 offen offset:1024// 00000000277C: E05C1400 8084141B
	buffer_load_dwordx4 a[24:27], v28, s[16:19], 0 offen       // 000000002784: E05C1000 8084181C
	buffer_load_dwordx4 a[28:31], v28, s[16:19], 0 offen offset:1024// 00000000278C: E05C1400 80841C1C
	buffer_load_dword v72, v70, s[36:39], 0 offen              // 000000002794: E0501000 80094846
	buffer_load_dwordx4 a[64:67], v33, s[20:23], 0 offen       // 00000000279C: E05C1000 80854021
	buffer_load_dwordx4 a[68:71], v34, s[20:23], 0 offen       // 0000000027A4: E05C1000 80854422
	buffer_load_dwordx4 a[72:75], v35, s[20:23], 0 offen       // 0000000027AC: E05C1000 80854823
	buffer_load_dwordx4 a[76:79], v36, s[20:23], 0 offen       // 0000000027B4: E05C1000 80854C24
	buffer_load_dwordx4 a[80:83], v33, s[20:23], 0 offen offset:1024// 0000000027BC: E05C1400 80855021
	buffer_load_dwordx4 a[84:87], v34, s[20:23], 0 offen offset:1024// 0000000027C4: E05C1400 80855422
	buffer_load_dwordx4 a[88:91], v35, s[20:23], 0 offen offset:1024// 0000000027CC: E05C1400 80855823
	buffer_load_dwordx4 a[92:95], v36, s[20:23], 0 offen offset:1024// 0000000027D4: E05C1400 80855C24
	v_lshrrev_b32_e32 v41, 4, v0                               // 0000000027DC: 20520084
	v_lshlrev_b32_e32 v42, 1, v41                              // 0000000027E0: 24545281
	v_and_b32_e32 v41, 15, v0                                  // 0000000027E4: 2652008F
	v_mul_i32_i24_e32 v41, 0x42, v41                           // 0000000027E8: 0C5252FF 00000042
	v_add_u32_e32 v42, v41, v42                                // 0000000027F0: 68545529
	v_lshlrev_b32_e32 v4, 2, v42                               // 0000000027F4: 24085482
	s_mul_i32 s60, s7, 32                                      // 0000000027F8: 923CA007
	v_add_u32_e32 v4, s60, v4                                  // 0000000027FC: 6808083C
	s_waitcnt vmcnt(16) lgkmcnt(0)                             // 000000002800: BF8C4070
	s_barrier                                                  // 000000002804: BF8A0000
	ds_read_b64 v[96:97], v4                                   // 000000002808: D8EC0000 60000004
	ds_read_b64 v[100:101], v4 offset:128                      // 000000002810: D8EC0080 64000004
	s_waitcnt lgkmcnt(0)                                       // 000000002818: BF8CC07F
	v_and_b32_e32 v41, 0xffff, v96                             // 00000000281C: 2652C0FF 0000FFFF
	v_lshrrev_b32_e32 v42, 16, v96                             // 000000002824: 2054C090
	v_and_b32_e32 v43, 0xffff, v97                             // 000000002828: 2656C2FF 0000FFFF
	v_lshrrev_b32_e32 v44, 16, v97                             // 000000002830: 2058C290
	v_cvt_f32_f16_e32 v96, v41                                 // 000000002834: 7EC01729
	v_cvt_f32_f16_e32 v97, v42                                 // 000000002838: 7EC2172A
	v_cvt_f32_f16_e32 v98, v43                                 // 00000000283C: 7EC4172B
	v_cvt_f32_f16_e32 v99, v44                                 // 000000002840: 7EC6172C
	v_and_b32_e32 v41, 0xffff, v100                            // 000000002844: 2652C8FF 0000FFFF
	v_lshrrev_b32_e32 v42, 16, v100                            // 00000000284C: 2054C890
	v_and_b32_e32 v43, 0xffff, v101                            // 000000002850: 2656CAFF 0000FFFF
	v_lshrrev_b32_e32 v44, 16, v101                            // 000000002858: 2058CA90
	v_cvt_f32_f16_e32 v100, v41                                // 00000000285C: 7EC81729
	v_cvt_f32_f16_e32 v101, v42                                // 000000002860: 7ECA172A
	v_cvt_f32_f16_e32 v102, v43                                // 000000002864: 7ECC172B
	v_cvt_f32_f16_e32 v103, v44                                // 000000002868: 7ECE172C
	v_mov_b32_e32 v62, 0x358637bd                              // 00000000286C: 7E7C02FF 358637BD
	v_max3_f32 v62, |v96|, |v97|, v62                          // 000000002874: D1D3033E 04FAC360
	v_max3_f32 v62, |v98|, |v99|, v62                          // 00000000287C: D1D3033E 04FAC762
	v_max3_f32 v62, |v100|, |v101|, v62                        // 000000002884: D1D3033E 04FACB64
	v_max3_f32 v62, |v102|, |v103|, v62                        // 00000000288C: D1D3033E 04FACF66
	ds_write_b32 v11, v62 offset:16896                         // 000000002894: D81A4200 00003E0B
	s_waitcnt lgkmcnt(0)                                       // 00000000289C: BF8CC07F
	s_barrier                                                  // 0000000028A0: BF8A0000
	ds_read_b32 v80, v10 offset:16896                          // 0000000028A4: D86C4200 5000000A
	ds_read_b32 v81, v10 offset:16960                          // 0000000028AC: D86C4240 5100000A
	ds_read_b32 v82, v10 offset:17024                          // 0000000028B4: D86C4280 5200000A
	ds_read_b32 v83, v10 offset:17088                          // 0000000028BC: D86C42C0 5300000A
	ds_read_b32 v84, v10 offset:17152                          // 0000000028C4: D86C4300 5400000A
	ds_read_b32 v85, v10 offset:17216                          // 0000000028CC: D86C4340 5500000A
	ds_read_b32 v86, v10 offset:17280                          // 0000000028D4: D86C4380 5600000A
	ds_read_b32 v87, v10 offset:17344                          // 0000000028DC: D86C43C0 5700000A
	ds_read_b32 v88, v10 offset:17408                          // 0000000028E4: D86C4400 5800000A
	ds_read_b32 v89, v10 offset:17472                          // 0000000028EC: D86C4440 5900000A
	ds_read_b32 v90, v10 offset:17536                          // 0000000028F4: D86C4480 5A00000A
	ds_read_b32 v91, v10 offset:17600                          // 0000000028FC: D86C44C0 5B00000A
	ds_read_b32 v92, v10 offset:17664                          // 000000002904: D86C4500 5C00000A
	ds_read_b32 v93, v10 offset:17728                          // 00000000290C: D86C4540 5D00000A
	ds_read_b32 v94, v10 offset:17792                          // 000000002914: D86C4580 5E00000A
	ds_read_b32 v95, v10 offset:17856                          // 00000000291C: D86C45C0 5F00000A
	s_waitcnt lgkmcnt(0)                                       // 000000002924: BF8CC07F
	v_max3_f32 v62, |v80|, |v81|, v62                          // 000000002928: D1D3033E 04FAA350
	v_max3_f32 v62, |v82|, |v83|, v62                          // 000000002930: D1D3033E 04FAA752
	v_max3_f32 v62, |v84|, |v85|, v62                          // 000000002938: D1D3033E 04FAAB54
	v_max3_f32 v62, |v86|, |v87|, v62                          // 000000002940: D1D3033E 04FAAF56
	v_max3_f32 v62, |v88|, |v89|, v62                          // 000000002948: D1D3033E 04FAB358
	v_max3_f32 v62, |v90|, |v91|, v62                          // 000000002950: D1D3033E 04FAB75A
	v_max3_f32 v62, |v92|, |v93|, v62                          // 000000002958: D1D3033E 04FABB5C
	v_max3_f32 v62, |v94|, |v95|, v62                          // 000000002960: D1D3033E 04FABF5E
	v_rcp_f32_e32 v62, v62                                     // 000000002968: 7E7C453E
	s_nop 1                                                    // 00000000296C: BF800001
	v_mul_f32_e32 v62, 0x42fe0000, v62                         // 000000002970: 0A7C7CFF 42FE0000
	v_mul_f32_e32 v96, v62, v96                                // 000000002978: 0AC0C13E
	v_mul_f32_e32 v97, v62, v97                                // 00000000297C: 0AC2C33E
	v_mul_f32_e32 v98, v62, v98                                // 000000002980: 0AC4C53E
	v_mul_f32_e32 v99, v62, v99                                // 000000002984: 0AC6C73E
	v_mul_f32_e32 v100, v62, v100                              // 000000002988: 0AC8C93E
	v_mul_f32_e32 v101, v62, v101                              // 00000000298C: 0ACACB3E
	v_mul_f32_e32 v102, v62, v102                              // 000000002990: 0ACCCD3E
	v_mul_f32_e32 v103, v62, v103                              // 000000002994: 0ACECF3E
	v_cvt_i32_f32_e32 v96, v96                                 // 000000002998: 7EC01160
	v_cvt_i32_f32_e32 v97, v97                                 // 00000000299C: 7EC21161
	v_cvt_i32_f32_e32 v98, v98                                 // 0000000029A0: 7EC41162
	v_cvt_i32_f32_e32 v99, v99                                 // 0000000029A4: 7EC61163
	v_cvt_i32_f32_e32 v100, v100                               // 0000000029A8: 7EC81164
	v_cvt_i32_f32_e32 v101, v101                               // 0000000029AC: 7ECA1165
	v_cvt_i32_f32_e32 v102, v102                               // 0000000029B0: 7ECC1166
	v_cvt_i32_f32_e32 v103, v103                               // 0000000029B4: 7ECE1167
	v_rcp_f32_e32 v54, v62                                     // 0000000029B8: 7E6C453E
	v_perm_b32 v96, v97, v96, s53                              // 0000000029BC: D1ED0060 00D6C161
	v_perm_b32 v96, v98, v96, s54                              // 0000000029C4: D1ED0060 00DAC162
	v_perm_b32 v96, v99, v96, s55                              // 0000000029CC: D1ED0060 00DEC163
	v_perm_b32 v97, v101, v100, s53                            // 0000000029D4: D1ED0061 00D6C965
	v_perm_b32 v97, v102, v97, s54                             // 0000000029DC: D1ED0061 00DAC366
	v_perm_b32 v97, v103, v97, s55                             // 0000000029E4: D1ED0061 00DEC367
	ds_write_b32 v13, v96 offset:25088                         // 0000000029EC: D81A6200 0000600D
	ds_write_b32 v13, v97 offset:26112                         // 0000000029F4: D81A6600 0000610D
	s_waitcnt lgkmcnt(0)                                       // 0000000029FC: BF8CC07F
	s_barrier                                                  // 000000002A00: BF8A0000
	v_and_b32_e32 v54, v9, v54                                 // 000000002A04: 266C6D09
	ds_read_b64 v[96:97], v12 offset:25088                     // 000000002A08: D8EC6200 6000000C
	ds_read_b64 v[98:99], v12 offset:25216                     // 000000002A10: D8EC6280 6200000C
	ds_read_b64 v[100:101], v12 offset:26112                   // 000000002A18: D8EC6600 6400000C
	ds_read_b64 v[102:103], v12 offset:26240                   // 000000002A20: D8EC6680 6600000C
	v_mov_b32_e32 v224, 0                                      // 000000002A28: 7FC00280
	v_mov_b32_e32 v225, 0                                      // 000000002A2C: 7FC20280
	v_mov_b32_e32 v226, 0                                      // 000000002A30: 7FC40280
	v_mov_b32_e32 v227, 0                                      // 000000002A34: 7FC60280
	v_mov_b32_e32 v192, 0                                      // 000000002A38: 7F800280
	v_mov_b32_e32 v193, 0                                      // 000000002A3C: 7F820280
	v_mov_b32_e32 v194, 0                                      // 000000002A40: 7F840280
	v_mov_b32_e32 v195, 0                                      // 000000002A44: 7F860280
	v_mov_b32_e32 v196, 0                                      // 000000002A48: 7F880280
	v_mov_b32_e32 v197, 0                                      // 000000002A4C: 7F8A0280
	v_mov_b32_e32 v198, 0                                      // 000000002A50: 7F8C0280
	v_mov_b32_e32 v199, 0                                      // 000000002A54: 7F8E0280
	v_or_b32_dpp v54, v54, v54 row_shr:8 row_mask:0xf bank_mask:0xf bound_ctrl:1// 000000002A58: 286C6CFA FF091836
	s_waitcnt vmcnt(8) lgkmcnt(0)                              // 000000002A60: BF8C0078
	s_barrier                                                  // 000000002A64: BF8A0000
	s_cmp_lt_u32 s73, 16                                       // 000000002A68: BF0A9049
	s_cbranch_scc1 label_09EB                                  // 000000002A6C: BF8507CF
	s_cmp_lt_i32 s7, 2                                         // 000000002A70: BF048207
	s_cbranch_scc0 label_0606                                  // 000000002A74: BF8403E8

0000000000002a78 <label_021E>:
	s_waitcnt vmcnt(8) lgkmcnt(0)                              // 000000002A78: BF8C0078
	v_mul_u32_u24_dpp v41, v20, v68 row_newbcast:0 row_mask:0xf bank_mask:0xf// 000000002A7C: 105288FA FF015014
	v_mul_u32_u24_dpp v42, v20, v68 row_newbcast:4 row_mask:0xf bank_mask:0xf// 000000002A84: 105488FA FF015414
	v_mul_u32_u24_dpp v43, v20, v68 row_newbcast:8 row_mask:0xf bank_mask:0xf// 000000002A8C: 105688FA FF015814
	v_mul_u32_u24_dpp v44, v20, v68 row_newbcast:12 row_mask:0xf bank_mask:0xf// 000000002A94: 105888FA FF015C14
	v_add_u32_e32 v29, v41, v6                                 // 000000002A9C: 683A0D29
	v_add_u32_e32 v30, v42, v6                                 // 000000002AA0: 683C0D2A
	v_add_u32_e32 v31, v43, v6                                 // 000000002AA4: 683E0D2B
	v_add_u32_e32 v32, v44, v6                                 // 000000002AA8: 68400D2C
	v_mul_u32_u24_dpp v41, v20, v78 quad_perm:[0,0,0,0] row_mask:0xf bank_mask:0xf// 000000002AAC: 10529CFA FF000014
	v_add_u32_e32 v3, v41, v74                                 // 000000002AB4: 68069529
	v_mul_u32_u24_dpp v41, v20, v78 quad_perm:[0,0,0,0] row_mask:0xf bank_mask:0xf// 000000002AB8: 10529CFA FF000014
	v_add_u32_e32 v71, v41, v75                                // 000000002AC0: 688E9729
	v_mfma_i32_16x16x32_i8 v[128:131], a[0:1], v[96:97], 0     // 000000002AC4: D3D70080 0A02C100
	v_mfma_i32_16x16x32_i8 v[128:131], a[2:3], v[98:99], v[128:131]// 000000002ACC: D3D70080 0E02C502
	buffer_load_dwordx4 a[32:35], v29, s[16:19], 0 offen       // 000000002AD4: E05C1000 8084201D
	v_mfma_i32_16x16x32_i8 v[128:131], a[4:5], v[100:101], v[128:131]// 000000002ADC: D3D70080 0E02C904
	v_mfma_i32_16x16x32_i8 v[128:131], a[6:7], v[102:103], v[128:131]// 000000002AE4: D3D70080 0E02CD06
	buffer_load_dword v19, v1, s[24:27], 0 offen               // 000000002AEC: E0501000 80061301
	v_mfma_i32_16x16x32_i8 v[132:135], a[8:9], v[96:97], 0     // 000000002AF4: D3D70084 0A02C108
	v_mfma_i32_16x16x32_i8 v[132:135], a[10:11], v[98:99], v[132:135]// 000000002AFC: D3D70084 0E12C50A
	buffer_load_dwordx4 a[36:39], v29, s[16:19], 0 offen offset:1024// 000000002B04: E05C1400 8084241D
	v_mfma_i32_16x16x32_i8 v[132:135], a[12:13], v[100:101], v[132:135]// 000000002B0C: D3D70084 0E12C90C
	v_mfma_i32_16x16x32_i8 v[132:135], a[14:15], v[102:103], v[132:135]// 000000002B14: D3D70084 0E12CD0E
	v_mfma_i32_16x16x32_i8 v[136:139], a[16:17], v[96:97], 0   // 000000002B1C: D3D70088 0A02C110
	v_mfma_i32_16x16x32_i8 v[136:139], a[18:19], v[98:99], v[136:139]// 000000002B24: D3D70088 0E22C512
	buffer_load_dwordx4 a[40:43], v30, s[16:19], 0 offen       // 000000002B2C: E05C1000 8084281E
	v_mfma_i32_16x16x32_i8 v[136:139], a[20:21], v[100:101], v[136:139]// 000000002B34: D3D70088 0E22C914
	v_mfma_i32_16x16x32_i8 v[136:139], a[22:23], v[102:103], v[136:139]// 000000002B3C: D3D70088 0E22CD16
	v_mfma_i32_16x16x32_i8 v[140:143], a[24:25], v[96:97], 0   // 000000002B44: D3D7008C 0A02C118
	v_mfma_i32_16x16x32_i8 v[140:143], a[26:27], v[98:99], v[140:143]// 000000002B4C: D3D7008C 0E32C51A
	buffer_load_dwordx4 a[44:47], v30, s[16:19], 0 offen offset:1024// 000000002B54: E05C1400 80842C1E
	v_mfma_i32_16x16x32_i8 v[140:143], a[28:29], v[100:101], v[140:143]// 000000002B5C: D3D7008C 0E32C91C
	v_mfma_i32_16x16x32_i8 v[140:143], a[30:31], v[102:103], v[140:143]// 000000002B64: D3D7008C 0E32CD1E
	buffer_load_dword v53, v3, s[32:35], 0 offen               // 000000002B6C: E0501000 80083503
	v_mov_b32_dpp v41, v52 row_shr:4 row_mask:0xf bank_mask:0xf// 000000002B74: 7E5202FA FF011434
	v_mov_b32_dpp v42, v52 row_shl:4 row_mask:0xf bank_mask:0xf// 000000002B7C: 7E5402FA FF010434
	v_cndmask_b32_e64 v248, v52, v41, s[44:45]                 // 000000002B84: D10000F8 00B25334
	v_cndmask_b32_e64 v249, v42, v52, s[44:45]                 // 000000002B8C: D10000F9 00B2692A
	v_mov_b32_dpp v41, v72 row_shr:4 row_mask:0xf bank_mask:0xf// 000000002B94: 7E5202FA FF011448
	v_mov_b32_dpp v42, v72 row_shl:4 row_mask:0xf bank_mask:0xf// 000000002B9C: 7E5402FA FF010448
	v_cndmask_b32_e64 v252, v72, v41, s[44:45]                 // 000000002BA4: D10000FC 00B25348
	v_cndmask_b32_e64 v253, v42, v72, s[44:45]                 // 000000002BAC: D10000FD 00B2912A
	v_or_b32_dpp v128, v136, v128 row_shr:8 row_mask:0xf bank_mask:0xf bound_ctrl:1// 000000002BB4: 290100FA FF091888
	v_or_b32_dpp v129, v137, v129 row_shr:8 row_mask:0xf bank_mask:0xf bound_ctrl:1// 000000002BBC: 290302FA FF091889
	v_or_b32_dpp v130, v138, v130 row_shr:8 row_mask:0xf bank_mask:0xf bound_ctrl:1// 000000002BC4: 290504FA FF09188A
	v_or_b32_dpp v131, v139, v131 row_shr:8 row_mask:0xf bank_mask:0xf bound_ctrl:1// 000000002BCC: 290706FA FF09188B
	v_or_b32_dpp v132, v140, v132 row_shr:8 row_mask:0xf bank_mask:0xf bound_ctrl:1// 000000002BD4: 290908FA FF09188C
	v_or_b32_dpp v133, v141, v133 row_shr:8 row_mask:0xf bank_mask:0xf bound_ctrl:1// 000000002BDC: 290B0AFA FF09188D
	v_or_b32_dpp v134, v142, v134 row_shr:8 row_mask:0xf bank_mask:0xf bound_ctrl:1// 000000002BE4: 290D0CFA FF09188E
	v_or_b32_dpp v135, v143, v135 row_shr:8 row_mask:0xf bank_mask:0xf bound_ctrl:1// 000000002BEC: 290F0EFA FF09188F
	buffer_load_dword v73, v71, s[36:39], 0 offen              // 000000002BF4: E0501000 80094947
	v_cvt_f32_i32_e32 v128, v128                               // 000000002BFC: 7F000B80
	v_cvt_f32_i32_e32 v129, v129                               // 000000002C00: 7F020B81
	v_cvt_f32_i32_e32 v130, v130                               // 000000002C04: 7F040B82
	v_cvt_f32_i32_e32 v131, v131                               // 000000002C08: 7F060B83
	v_cvt_f32_i32_e32 v132, v132                               // 000000002C0C: 7F080B84
	v_cvt_f32_i32_e32 v133, v133                               // 000000002C10: 7F0A0B85
	v_cvt_f32_i32_e32 v134, v134                               // 000000002C14: 7F0C0B86
	v_cvt_f32_i32_e32 v135, v135                               // 000000002C18: 7F0E0B87
	v_mul_f32_e32 v128, v54, v128                              // 000000002C1C: 0B010136
	v_mul_f32_e32 v129, v54, v129                              // 000000002C20: 0B030336
	v_mul_f32_e32 v130, v54, v130                              // 000000002C24: 0B050536
	v_mul_f32_e32 v131, v54, v131                              // 000000002C28: 0B070736
	v_mul_f32_e32 v132, v54, v132                              // 000000002C2C: 0B090936
	v_mul_f32_e32 v133, v54, v133                              // 000000002C30: 0B0B0B36
	v_mul_f32_e32 v134, v54, v134                              // 000000002C34: 0B0D0D36
	v_mul_f32_e32 v135, v54, v135                              // 000000002C38: 0B0F0F36
	buffer_load_dwordx4 a[48:51], v31, s[16:19], 0 offen       // 000000002C3C: E05C1000 8084301F
	v_mul_f32_dpp v128, v248, v128 quad_perm:[0,0,0,0] row_mask:0xf bank_mask:0xf// 000000002C44: 0B0100FA FF0000F8
	v_mul_f32_dpp v129, v248, v129 quad_perm:[1,1,1,1] row_mask:0xf bank_mask:0xf// 000000002C4C: 0B0302FA FF0055F8
	v_mul_f32_dpp v130, v248, v130 quad_perm:[2,2,2,2] row_mask:0xf bank_mask:0xf// 000000002C54: 0B0504FA FF00AAF8
	v_mul_f32_dpp v131, v248, v131 quad_perm:[3,3,3,3] row_mask:0xf bank_mask:0xf// 000000002C5C: 0B0706FA FF00FFF8
	v_mul_f32_dpp v132, v249, v132 quad_perm:[0,0,0,0] row_mask:0xf bank_mask:0xf// 000000002C64: 0B0908FA FF0000F9
	v_mul_f32_dpp v133, v249, v133 quad_perm:[1,1,1,1] row_mask:0xf bank_mask:0xf// 000000002C6C: 0B0B0AFA FF0055F9
	v_mul_f32_dpp v134, v249, v134 quad_perm:[2,2,2,2] row_mask:0xf bank_mask:0xf// 000000002C74: 0B0D0CFA FF00AAF9
	v_mul_f32_dpp v135, v249, v135 quad_perm:[3,3,3,3] row_mask:0xf bank_mask:0xf// 000000002C7C: 0B0F0EFA FF00FFF9
	buffer_load_dwordx4 a[52:55], v31, s[16:19], 0 offen offset:1024// 000000002C84: E05C1400 8084341F
	v_mov_b32_e32 v62, v128                                    // 000000002C8C: 7E7C0380
	v_max3_f32 v62, v128, v129, v62                            // 000000002C90: D1D3003E 04FB0380
	v_max3_f32 v62, v130, v131, v62                            // 000000002C98: D1D3003E 04FB0782
	v_max3_f32 v62, v132, v133, v62                            // 000000002CA0: D1D3003E 04FB0B84
	v_max3_f32 v62, v134, v135, v62                            // 000000002CA8: D1D3003E 04FB0F86
	ds_write_b32 v11, v62 offset:16896                         // 000000002CB0: D81A4200 00003E0B
	buffer_load_dwordx4 a[56:59], v32, s[16:19], 0 offen       // 000000002CB8: E05C1000 80843820
	v_mul_u32_u24_dpp v41, v20, v68 row_newbcast:1 row_mask:0xf bank_mask:0xf// 000000002CC0: 105288FA FF015114
	v_mul_u32_u24_dpp v42, v20, v68 row_newbcast:5 row_mask:0xf bank_mask:0xf// 000000002CC8: 105488FA FF015514
	v_mul_u32_u24_dpp v43, v20, v68 row_newbcast:9 row_mask:0xf bank_mask:0xf// 000000002CD0: 105688FA FF015914
	v_mul_u32_u24_dpp v44, v20, v68 row_newbcast:13 row_mask:0xf bank_mask:0xf// 000000002CD8: 105888FA FF015D14
	v_add_u32_e32 v37, v41, v7                                 // 000000002CE0: 684A0F29
	v_add_u32_e32 v38, v42, v7                                 // 000000002CE4: 684C0F2A
	v_add_u32_e32 v39, v43, v7                                 // 000000002CE8: 684E0F2B
	v_add_u32_e32 v40, v44, v7                                 // 000000002CEC: 68500F2C
	s_waitcnt lgkmcnt(0)                                       // 000000002CF0: BF8CC07F
	s_barrier                                                  // 000000002CF4: BF8A0000
	ds_read_b32 v80, v10 offset:16896                          // 000000002CF8: D86C4200 5000000A
	ds_read_b32 v81, v10 offset:16960                          // 000000002D00: D86C4240 5100000A
	ds_read_b32 v82, v10 offset:17024                          // 000000002D08: D86C4280 5200000A
	ds_read_b32 v83, v10 offset:17088                          // 000000002D10: D86C42C0 5300000A
	ds_read_b32 v84, v10 offset:17152                          // 000000002D18: D86C4300 5400000A
	ds_read_b32 v85, v10 offset:17216                          // 000000002D20: D86C4340 5500000A
	ds_read_b32 v86, v10 offset:17280                          // 000000002D28: D86C4380 5600000A
	ds_read_b32 v87, v10 offset:17344                          // 000000002D30: D86C43C0 5700000A
	ds_read_b32 v88, v10 offset:17408                          // 000000002D38: D86C4400 5800000A
	ds_read_b32 v89, v10 offset:17472                          // 000000002D40: D86C4440 5900000A
	ds_read_b32 v90, v10 offset:17536                          // 000000002D48: D86C4480 5A00000A
	ds_read_b32 v91, v10 offset:17600                          // 000000002D50: D86C44C0 5B00000A
	ds_read_b32 v92, v10 offset:17664                          // 000000002D58: D86C4500 5C00000A
	ds_read_b32 v93, v10 offset:17728                          // 000000002D60: D86C4540 5D00000A
	ds_read_b32 v94, v10 offset:17792                          // 000000002D68: D86C4580 5E00000A
	ds_read_b32 v95, v10 offset:17856                          // 000000002D70: D86C45C0 5F00000A
	buffer_load_dwordx4 a[60:63], v32, s[16:19], 0 offen offset:1024// 000000002D78: E05C1400 80843C20
	v_mul_f32_e32 v224, v63, v224                              // 000000002D80: 0BC1C13F
	v_mul_f32_e32 v225, v63, v225                              // 000000002D84: 0BC3C33F
	v_mul_f32_e32 v226, v63, v226                              // 000000002D88: 0BC5C53F
	v_mul_f32_e32 v227, v63, v227                              // 000000002D8C: 0BC7C73F
	v_or_b32_dpp v192, v196, v192 row_shr:8 row_mask:0xf bank_mask:0xf bound_ctrl:1// 000000002D90: 298180FA FF0918C4
	v_or_b32_dpp v193, v197, v193 row_shr:8 row_mask:0xf bank_mask:0xf bound_ctrl:1// 000000002D98: 298382FA FF0918C5
	v_or_b32_dpp v194, v198, v194 row_shr:8 row_mask:0xf bank_mask:0xf bound_ctrl:1// 000000002DA0: 298584FA FF0918C6
	v_or_b32_dpp v195, v199, v195 row_shr:8 row_mask:0xf bank_mask:0xf bound_ctrl:1// 000000002DA8: 298786FA FF0918C7
	s_waitcnt lgkmcnt(0)                                       // 000000002DB0: BF8CC07F
	v_max3_f32 v62, v80, v81, v62                              // 000000002DB4: D1D3003E 04FAA350
	v_max3_f32 v62, v82, v83, v62                              // 000000002DBC: D1D3003E 04FAA752
	v_max3_f32 v62, v84, v85, v62                              // 000000002DC4: D1D3003E 04FAAB54
	v_max3_f32 v62, v86, v87, v62                              // 000000002DCC: D1D3003E 04FAAF56
	v_max3_f32 v62, v88, v89, v62                              // 000000002DD4: D1D3003E 04FAB358
	v_max3_f32 v62, v90, v91, v62                              // 000000002DDC: D1D3003E 04FAB75A
	v_max3_f32 v62, v92, v93, v62                              // 000000002DE4: D1D3003E 04FABB5C
	v_max3_f32 v62, v94, v95, v62                              // 000000002DEC: D1D3003E 04FABF5E
	buffer_load_dwordx4 a[96:99], v37, s[20:23], 0 offen       // 000000002DF4: E05C1000 80856025
	v_cmp_eq_u32_e64 s[40:41], v69, v14                        // 000000002DFC: D0CA0028 00021D45
	s_nop 1                                                    // 000000002E04: BF800001
	v_mov_b32_dpp v41, v62 row_ror:8 row_mask:0xf bank_mask:0xf// 000000002E08: 7E5202FA FF01283E
	v_max_f32_e32 v62, v62, v41                                // 000000002E10: 167C533E
	v_max_f32_e32 v18, v62, v14                                // 000000002E14: 16241D3E
	v_mul_f32_e32 v67, s64, v18                                // 000000002E18: 0A862440
	v_fma_f32 v128, v128, s64, -v67                            // 000000002E1C: D1CB0080 850C8180
	v_fma_f32 v129, v129, s64, -v67                            // 000000002E24: D1CB0081 850C8181
	v_fma_f32 v130, v130, s64, -v67                            // 000000002E2C: D1CB0082 850C8182
	v_fma_f32 v131, v131, s64, -v67                            // 000000002E34: D1CB0083 850C8183
	v_fma_f32 v132, v132, s64, -v67                            // 000000002E3C: D1CB0084 850C8184
	v_fma_f32 v133, v133, s64, -v67                            // 000000002E44: D1CB0085 850C8185
	v_fma_f32 v134, v134, s64, -v67                            // 000000002E4C: D1CB0086 850C8186
	v_fma_f32 v135, v135, s64, -v67                            // 000000002E54: D1CB0087 850C8187
	buffer_load_dwordx4 a[100:103], v38, s[20:23], 0 offen     // 000000002E5C: E05C1000 80856426
	v_exp_f32_e32 v128, v128                                   // 000000002E64: 7F004180
	v_exp_f32_e32 v129, v129                                   // 000000002E68: 7F024181
	v_exp_f32_e32 v130, v130                                   // 000000002E6C: 7F044182
	v_exp_f32_e32 v131, v131                                   // 000000002E70: 7F064183
	v_exp_f32_e32 v132, v132                                   // 000000002E74: 7F084184
	v_exp_f32_e32 v133, v133                                   // 000000002E78: 7F0A4185
	v_exp_f32_e32 v134, v134                                   // 000000002E7C: 7F0C4186
	v_exp_f32_e32 v135, v135                                   // 000000002E80: 7F0E4187
	buffer_load_dwordx4 a[104:107], v39, s[20:23], 0 offen     // 000000002E84: E05C1000 80856827
	v_mul_f32_dpp v240, v252, v128 quad_perm:[0,0,0,0] row_mask:0xf bank_mask:0xf// 000000002E8C: 0BE100FA FF0000FC
	v_mul_f32_dpp v241, v252, v129 quad_perm:[1,1,1,1] row_mask:0xf bank_mask:0xf// 000000002E94: 0BE302FA FF0055FC
	v_mul_f32_dpp v242, v252, v130 quad_perm:[2,2,2,2] row_mask:0xf bank_mask:0xf// 000000002E9C: 0BE504FA FF00AAFC
	v_mul_f32_dpp v243, v252, v131 quad_perm:[3,3,3,3] row_mask:0xf bank_mask:0xf// 000000002EA4: 0BE706FA FF00FFFC
	v_mul_f32_dpp v244, v253, v132 quad_perm:[0,0,0,0] row_mask:0xf bank_mask:0xf// 000000002EAC: 0BE908FA FF0000FD
	v_mul_f32_dpp v245, v253, v133 quad_perm:[1,1,1,1] row_mask:0xf bank_mask:0xf// 000000002EB4: 0BEB0AFA FF0055FD
	v_mul_f32_dpp v246, v253, v134 quad_perm:[2,2,2,2] row_mask:0xf bank_mask:0xf// 000000002EBC: 0BED0CFA FF00AAFD
	v_mul_f32_dpp v247, v253, v135 quad_perm:[3,3,3,3] row_mask:0xf bank_mask:0xf// 000000002EC4: 0BEF0EFA FF00FFFD
	v_mov_b32_e32 v62, 0x358637bd                              // 000000002ECC: 7E7C02FF 358637BD
	v_max3_f32 v62, |v240|, |v241|, v62                        // 000000002ED4: D1D3033E 04FBE3F0
	v_max3_f32 v62, |v242|, |v243|, v62                        // 000000002EDC: D1D3033E 04FBE7F2
	v_max3_f32 v62, |v244|, |v245|, v62                        // 000000002EE4: D1D3033E 04FBEBF4
	v_max3_f32 v62, |v246|, |v247|, v62                        // 000000002EEC: D1D3033E 04FBEFF6
	buffer_load_dwordx4 a[108:111], v40, s[20:23], 0 offen     // 000000002EF4: E05C1000 80856C28
	ds_write_b32 v11, v62 offset:20992                         // 000000002EFC: D81A5200 00003E0B
	v_sub_f32_e32 v63, v14, v18                                // 000000002F04: 047E250E
	v_cndmask_b32_e64 v63, v63, 0, s[40:41]                    // 000000002F08: D100003F 00A1013F
	v_mov_b32_e32 v14, v18                                     // 000000002F10: 7E1C0312
	v_mul_f32_e32 v63, s64, v63                                // 000000002F14: 0A7E7E40
	v_exp_f32_e32 v63, v63                                     // 000000002F18: 7E7E413F
	s_waitcnt lgkmcnt(0)                                       // 000000002F1C: BF8CC07F
	s_barrier                                                  // 000000002F20: BF8A0000
	ds_read_b32 v80, v10 offset:20992                          // 000000002F24: D86C5200 5000000A
	ds_read_b32 v81, v10 offset:21056                          // 000000002F2C: D86C5240 5100000A
	ds_read_b32 v82, v10 offset:21120                          // 000000002F34: D86C5280 5200000A
	ds_read_b32 v83, v10 offset:21184                          // 000000002F3C: D86C52C0 5300000A
	ds_read_b32 v84, v10 offset:21248                          // 000000002F44: D86C5300 5400000A
	ds_read_b32 v85, v10 offset:21312                          // 000000002F4C: D86C5340 5500000A
	ds_read_b32 v86, v10 offset:21376                          // 000000002F54: D86C5380 5600000A
	ds_read_b32 v87, v10 offset:21440                          // 000000002F5C: D86C53C0 5700000A
	ds_read_b32 v88, v10 offset:21504                          // 000000002F64: D86C5400 5800000A
	ds_read_b32 v89, v10 offset:21568                          // 000000002F6C: D86C5440 5900000A
	ds_read_b32 v90, v10 offset:21632                          // 000000002F74: D86C5480 5A00000A
	ds_read_b32 v91, v10 offset:21696                          // 000000002F7C: D86C54C0 5B00000A
	ds_read_b32 v92, v10 offset:21760                          // 000000002F84: D86C5500 5C00000A
	ds_read_b32 v93, v10 offset:21824                          // 000000002F8C: D86C5540 5D00000A
	ds_read_b32 v94, v10 offset:21888                          // 000000002F94: D86C5580 5E00000A
	ds_read_b32 v95, v10 offset:21952                          // 000000002F9C: D86C55C0 5F00000A
	v_mul_f32_e32 v47, v63, v47                                // 000000002FA4: 0A5E5F3F
	v_mov_b32_e32 v51, v128                                    // 000000002FA8: 7E660380
	v_add_f32_e32 v51, v129, v51                               // 000000002FAC: 02666781
	v_add_f32_e32 v51, v130, v51                               // 000000002FB0: 02666782
	v_add_f32_e32 v51, v131, v51                               // 000000002FB4: 02666783
	v_add_f32_e32 v51, v132, v51                               // 000000002FB8: 02666784
	v_add_f32_e32 v51, v133, v51                               // 000000002FBC: 02666785
	v_add_f32_e32 v51, v134, v51                               // 000000002FC0: 02666786
	v_add_f32_e32 v51, v135, v51                               // 000000002FC4: 02666787
	v_add_f32_e32 v47, v51, v47                                // 000000002FC8: 025E5F33
	s_waitcnt lgkmcnt(0)                                       // 000000002FCC: BF8CC07F
	v_max3_f32 v62, |v80|, |v81|, v62                          // 000000002FD0: D1D3033E 04FAA350
	v_max3_f32 v62, |v82|, |v83|, v62                          // 000000002FD8: D1D3033E 04FAA752
	v_max3_f32 v62, |v84|, |v85|, v62                          // 000000002FE0: D1D3033E 04FAAB54
	v_max3_f32 v62, |v86|, |v87|, v62                          // 000000002FE8: D1D3033E 04FAAF56
	v_max3_f32 v62, |v88|, |v89|, v62                          // 000000002FF0: D1D3033E 04FAB358
	v_max3_f32 v62, |v90|, |v91|, v62                          // 000000002FF8: D1D3033E 04FAB75A
	v_max3_f32 v62, |v92|, |v93|, v62                          // 000000003000: D1D3033E 04FABB5C
	v_max3_f32 v62, |v94|, |v95|, v62                          // 000000003008: D1D3033E 04FABF5E
	s_nop 2                                                    // 000000003010: BF800002
	v_mov_b32_dpp v41, v62 row_ror:8 row_mask:0xf bank_mask:0xf// 000000003014: 7E5202FA FF01283E
	v_max_f32_e32 v62, v62, v41                                // 00000000301C: 167C533E
	v_rcp_f32_e32 v62, v62                                     // 000000003020: 7E7C453E
	s_nop 1                                                    // 000000003024: BF800001
	v_mul_f32_e32 v62, 0x42fe0000, v62                         // 000000003028: 0A7C7CFF 42FE0000
	v_mul_f32_e32 v128, v62, v240                              // 000000003030: 0B01E13E
	v_mul_f32_e32 v129, v62, v241                              // 000000003034: 0B03E33E
	v_mul_f32_e32 v130, v62, v242                              // 000000003038: 0B05E53E
	v_mul_f32_e32 v131, v62, v243                              // 00000000303C: 0B07E73E
	v_mul_f32_e32 v132, v62, v244                              // 000000003040: 0B09E93E
	v_mul_f32_e32 v133, v62, v245                              // 000000003044: 0B0BEB3E
	v_mul_f32_e32 v134, v62, v246                              // 000000003048: 0B0DED3E
	v_mul_f32_e32 v135, v62, v247                              // 00000000304C: 0B0FEF3E
	v_cvt_i32_f32_e32 v128, v128                               // 000000003050: 7F001180
	v_cvt_i32_f32_e32 v129, v129                               // 000000003054: 7F021181
	v_cvt_i32_f32_e32 v130, v130                               // 000000003058: 7F041182
	v_cvt_i32_f32_e32 v131, v131                               // 00000000305C: 7F061183
	v_cvt_i32_f32_e32 v132, v132                               // 000000003060: 7F081184
	v_cvt_i32_f32_e32 v133, v133                               // 000000003064: 7F0A1185
	v_cvt_i32_f32_e32 v134, v134                               // 000000003068: 7F0C1186
	v_cvt_i32_f32_e32 v135, v135                               // 00000000306C: 7F0E1187
	v_perm_b32 v128, v129, v128, s53                           // 000000003070: D1ED0080 00D70181
	v_perm_b32 v128, v130, v128, s54                           // 000000003078: D1ED0080 00DB0182
	v_perm_b32 v128, v131, v128, s55                           // 000000003080: D1ED0080 00DF0183
	v_perm_b32 v129, v133, v132, s53                           // 000000003088: D1ED0081 00D70985
	v_perm_b32 v129, v134, v129, s54                           // 000000003090: D1ED0081 00DB0386
	v_perm_b32 v129, v135, v129, s55                           // 000000003098: D1ED0081 00DF0387
	ds_write_b32 v13, v128 offset:25088                        // 0000000030A0: D81A6200 0000800D
	ds_write_b32 v13, v129 offset:26112                        // 0000000030A8: D81A6600 0000810D
	v_cvt_f32_i32_e32 v192, v192                               // 0000000030B0: 7F800BC0
	v_cvt_f32_i32_e32 v193, v193                               // 0000000030B4: 7F820BC1
	v_cvt_f32_i32_e32 v194, v194                               // 0000000030B8: 7F840BC2
	v_cvt_f32_i32_e32 v195, v195                               // 0000000030BC: 7F860BC3
	v_mul_f32_e32 v192, v58, v192                              // 0000000030C0: 0B81813A
	v_mul_f32_e32 v193, v58, v193                              // 0000000030C4: 0B83833A
	v_mul_f32_e32 v194, v58, v194                              // 0000000030C8: 0B85853A
	v_mul_f32_e32 v195, v58, v195                              // 0000000030CC: 0B87873A
	v_rcp_f32_e32 v58, v62                                     // 0000000030D0: 7E74453E
	s_waitcnt lgkmcnt(0)                                       // 0000000030D4: BF8CC07F
	s_barrier                                                  // 0000000030D8: BF8A0000
	ds_read_b64 v[128:129], v12 offset:25088                   // 0000000030DC: D8EC6200 8000000C
	ds_read_b64 v[130:131], v12 offset:25216                   // 0000000030E4: D8EC6280 8200000C
	ds_read_b64 v[132:133], v12 offset:26112                   // 0000000030EC: D8EC6600 8400000C
	ds_read_b64 v[134:135], v12 offset:26240                   // 0000000030F4: D8EC6680 8600000C
	v_add_f32_e32 v224, v224, v192                             // 0000000030FC: 03C181E0
	v_add_f32_e32 v225, v225, v193                             // 000000003100: 03C383E1
	v_add_f32_e32 v226, v226, v194                             // 000000003104: 03C585E2
	v_add_f32_e32 v227, v227, v195                             // 000000003108: 03C787E3
	s_waitcnt lgkmcnt(3)                                       // 00000000310C: BF8CC37F
	v_mov_b32_dpp v136, v128 row_shl:8 row_mask:0xf bank_mask:0xf bound_ctrl:1// 000000003110: 7F1002FA FF090880
	v_and_b32_e32 v128, v128, v9                               // 000000003118: 27001380
	v_mov_b32_dpp v137, v129 row_shl:8 row_mask:0xf bank_mask:0xf bound_ctrl:1// 00000000311C: 7F1202FA FF090881
	v_and_b32_e32 v129, v129, v9                               // 000000003124: 27021381
	s_waitcnt lgkmcnt(2)                                       // 000000003128: BF8CC27F
	v_mov_b32_dpp v138, v130 row_shl:8 row_mask:0xf bank_mask:0xf bound_ctrl:1// 00000000312C: 7F1402FA FF090882
	v_and_b32_e32 v130, v130, v9                               // 000000003134: 27041382
	v_mov_b32_dpp v139, v131 row_shl:8 row_mask:0xf bank_mask:0xf bound_ctrl:1// 000000003138: 7F1602FA FF090883
	v_and_b32_e32 v131, v131, v9                               // 000000003140: 27061383
	s_waitcnt lgkmcnt(1)                                       // 000000003144: BF8CC17F
	v_mov_b32_dpp v140, v132 row_shl:8 row_mask:0xf bank_mask:0xf bound_ctrl:1// 000000003148: 7F1802FA FF090884
	v_and_b32_e32 v132, v132, v9                               // 000000003150: 27081384
	v_mov_b32_dpp v141, v133 row_shl:8 row_mask:0xf bank_mask:0xf bound_ctrl:1// 000000003154: 7F1A02FA FF090885
	v_and_b32_e32 v133, v133, v9                               // 00000000315C: 270A1385
	s_waitcnt lgkmcnt(0)                                       // 000000003160: BF8CC07F
	v_mov_b32_dpp v142, v134 row_shl:8 row_mask:0xf bank_mask:0xf bound_ctrl:1// 000000003164: 7F1C02FA FF090886
	v_and_b32_e32 v134, v134, v9                               // 00000000316C: 270C1386
	v_mov_b32_dpp v143, v135 row_shl:8 row_mask:0xf bank_mask:0xf bound_ctrl:1// 000000003170: 7F1E02FA FF090887
	v_and_b32_e32 v135, v135, v9                               // 000000003178: 270E1387
	s_waitcnt vmcnt(15)                                        // 00000000317C: BF8C0F7F
	v_mfma_i32_16x16x32_i8 v[192:195], a[64:65], v[128:129], 0 // 000000003180: D3D700C0 0A030140
	v_mfma_i32_16x16x32_i8 v[192:195], a[66:67], v[130:131], v[192:195]// 000000003188: D3D700C0 0F030542
	buffer_load_dwordx4 a[112:115], v37, s[20:23], 0 offen offset:1024// 000000003190: E05C1400 80857025
	v_mfma_i32_16x16x32_i8 v[192:195], a[68:69], v[132:133], v[192:195]// 000000003198: D3D700C0 0F030944
	v_mfma_i32_16x16x32_i8 v[192:195], a[70:71], v[134:135], v[192:195]// 0000000031A0: D3D700C0 0F030D46
	v_mfma_i32_16x16x32_i8 v[192:195], a[72:73], v[136:137], v[192:195]// 0000000031A8: D3D700C0 0F031148
	v_mfma_i32_16x16x32_i8 v[192:195], a[74:75], v[138:139], v[192:195]// 0000000031B0: D3D700C0 0F03154A
	buffer_load_dwordx4 a[116:119], v38, s[20:23], 0 offen offset:1024// 0000000031B8: E05C1400 80857426
	v_mfma_i32_16x16x32_i8 v[192:195], a[76:77], v[140:141], v[192:195]// 0000000031C0: D3D700C0 0F03194C
	v_mfma_i32_16x16x32_i8 v[192:195], a[78:79], v[142:143], v[192:195]// 0000000031C8: D3D700C0 0F031D4E
	v_mfma_i32_16x16x32_i8 v[196:199], a[80:81], v[128:129], 0 // 0000000031D0: D3D700C4 0A030150
	v_mfma_i32_16x16x32_i8 v[196:199], a[82:83], v[130:131], v[196:199]// 0000000031D8: D3D700C4 0F130552
	buffer_load_dwordx4 a[120:123], v39, s[20:23], 0 offen offset:1024// 0000000031E0: E05C1400 80857827
	v_mfma_i32_16x16x32_i8 v[196:199], a[84:85], v[132:133], v[196:199]// 0000000031E8: D3D700C4 0F130954
	v_mfma_i32_16x16x32_i8 v[196:199], a[86:87], v[134:135], v[196:199]// 0000000031F0: D3D700C4 0F130D56
	v_mfma_i32_16x16x32_i8 v[196:199], a[88:89], v[136:137], v[196:199]// 0000000031F8: D3D700C4 0F131158
	v_mfma_i32_16x16x32_i8 v[196:199], a[90:91], v[138:139], v[196:199]// 000000003200: D3D700C4 0F13155A
	buffer_load_dwordx4 a[124:127], v40, s[20:23], 0 offen offset:1024// 000000003208: E05C1400 80857C28
	v_mfma_i32_16x16x32_i8 v[196:199], a[92:93], v[140:141], v[196:199]// 000000003210: D3D700C4 0F13195C
	s_lshr_b32 s57, s70, 4                                     // 000000003218: 8F398446
	s_add_u32 s57, 48, s57                                     // 00000000321C: 803939B0
	v_mfma_i32_16x16x32_i8 v[196:199], a[94:95], v[142:143], v[196:199]// 000000003220: D3D700C4 0F131D5E
	s_cmp_ge_u32 s57, s73                                      // 000000003228: BF094939
	s_cselect_b32 s56, 0, s56                                  // 00000000322C: 85383880
	v_add_u32_e32 v1, s56, v1                                  // 000000003230: 68020238
	s_addk_i32 s70, 0x100                                      // 000000003234: B7460100
	s_cmp_lt_i32 s70, s71                                      // 000000003238: BF044746
	s_cbranch_scc0 label_0603                                  // 00000000323C: BF8401F3
	s_waitcnt vmcnt(8) lgkmcnt(0)                              // 000000003240: BF8C0078
	v_mul_u32_u24_dpp v41, v19, v68 row_newbcast:0 row_mask:0xf bank_mask:0xf// 000000003244: 105288FA FF015013
	v_mul_u32_u24_dpp v42, v19, v68 row_newbcast:4 row_mask:0xf bank_mask:0xf// 00000000324C: 105488FA FF015413
	v_mul_u32_u24_dpp v43, v19, v68 row_newbcast:8 row_mask:0xf bank_mask:0xf// 000000003254: 105688FA FF015813
	v_mul_u32_u24_dpp v44, v19, v68 row_newbcast:12 row_mask:0xf bank_mask:0xf// 00000000325C: 105888FA FF015C13
	v_add_u32_e32 v25, v41, v6                                 // 000000003264: 68320D29
	v_add_u32_e32 v26, v42, v6                                 // 000000003268: 68340D2A
	v_add_u32_e32 v27, v43, v6                                 // 00000000326C: 68360D2B
	v_add_u32_e32 v28, v44, v6                                 // 000000003270: 68380D2C
	v_mul_u32_u24_dpp v41, v19, v78 quad_perm:[0,0,0,0] row_mask:0xf bank_mask:0xf// 000000003274: 10529CFA FF000013
	v_add_u32_e32 v2, v41, v74                                 // 00000000327C: 68049529
	v_mul_u32_u24_dpp v41, v19, v78 quad_perm:[0,0,0,0] row_mask:0xf bank_mask:0xf// 000000003280: 10529CFA FF000013
	v_add_u32_e32 v70, v41, v75                                // 000000003288: 688C9729
	v_mfma_i32_16x16x32_i8 v[128:131], a[32:33], v[96:97], 0   // 00000000328C: D3D70080 0A02C120
	v_mfma_i32_16x16x32_i8 v[128:131], a[34:35], v[98:99], v[128:131]// 000000003294: D3D70080 0E02C522
	buffer_load_dwordx4 a[0:3], v25, s[16:19], 0 offen         // 00000000329C: E05C1000 80840019
	v_mfma_i32_16x16x32_i8 v[128:131], a[36:37], v[100:101], v[128:131]// 0000000032A4: D3D70080 0E02C924
	v_mfma_i32_16x16x32_i8 v[128:131], a[38:39], v[102:103], v[128:131]// 0000000032AC: D3D70080 0E02CD26
	buffer_load_dword v20, v1, s[24:27], 0 offen               // 0000000032B4: E0501000 80061401
	v_mfma_i32_16x16x32_i8 v[132:135], a[40:41], v[96:97], 0   // 0000000032BC: D3D70084 0A02C128
	v_mfma_i32_16x16x32_i8 v[132:135], a[42:43], v[98:99], v[132:135]// 0000000032C4: D3D70084 0E12C52A
	buffer_load_dwordx4 a[4:7], v25, s[16:19], 0 offen offset:1024// 0000000032CC: E05C1400 80840419
	v_mfma_i32_16x16x32_i8 v[132:135], a[44:45], v[100:101], v[132:135]// 0000000032D4: D3D70084 0E12C92C
	v_mfma_i32_16x16x32_i8 v[132:135], a[46:47], v[102:103], v[132:135]// 0000000032DC: D3D70084 0E12CD2E
	v_mfma_i32_16x16x32_i8 v[136:139], a[48:49], v[96:97], 0   // 0000000032E4: D3D70088 0A02C130
	v_mfma_i32_16x16x32_i8 v[136:139], a[50:51], v[98:99], v[136:139]// 0000000032EC: D3D70088 0E22C532
	buffer_load_dwordx4 a[8:11], v26, s[16:19], 0 offen        // 0000000032F4: E05C1000 8084081A
	v_mfma_i32_16x16x32_i8 v[136:139], a[52:53], v[100:101], v[136:139]// 0000000032FC: D3D70088 0E22C934
	v_mfma_i32_16x16x32_i8 v[136:139], a[54:55], v[102:103], v[136:139]// 000000003304: D3D70088 0E22CD36
	v_mfma_i32_16x16x32_i8 v[140:143], a[56:57], v[96:97], 0   // 00000000330C: D3D7008C 0A02C138
	v_mfma_i32_16x16x32_i8 v[140:143], a[58:59], v[98:99], v[140:143]// 000000003314: D3D7008C 0E32C53A
	buffer_load_dwordx4 a[12:15], v26, s[16:19], 0 offen offset:1024// 00000000331C: E05C1400 80840C1A
	v_mfma_i32_16x16x32_i8 v[140:143], a[60:61], v[100:101], v[140:143]// 000000003324: D3D7008C 0E32C93C
	v_mfma_i32_16x16x32_i8 v[140:143], a[62:63], v[102:103], v[140:143]// 00000000332C: D3D7008C 0E32CD3E
	buffer_load_dword v52, v2, s[32:35], 0 offen               // 000000003334: E0501000 80083402
	v_mov_b32_dpp v41, v53 row_shr:4 row_mask:0xf bank_mask:0xf// 00000000333C: 7E5202FA FF011435
	v_mov_b32_dpp v42, v53 row_shl:4 row_mask:0xf bank_mask:0xf// 000000003344: 7E5402FA FF010435
	v_cndmask_b32_e64 v248, v53, v41, s[44:45]                 // 00000000334C: D10000F8 00B25335
	v_cndmask_b32_e64 v249, v42, v53, s[44:45]                 // 000000003354: D10000F9 00B26B2A
	v_mov_b32_dpp v41, v73 row_shr:4 row_mask:0xf bank_mask:0xf// 00000000335C: 7E5202FA FF011449
	v_mov_b32_dpp v42, v73 row_shl:4 row_mask:0xf bank_mask:0xf// 000000003364: 7E5402FA FF010449
	v_cndmask_b32_e64 v252, v73, v41, s[44:45]                 // 00000000336C: D10000FC 00B25349
	v_cndmask_b32_e64 v253, v42, v73, s[44:45]                 // 000000003374: D10000FD 00B2932A
	v_or_b32_dpp v128, v136, v128 row_shr:8 row_mask:0xf bank_mask:0xf bound_ctrl:1// 00000000337C: 290100FA FF091888
	v_or_b32_dpp v129, v137, v129 row_shr:8 row_mask:0xf bank_mask:0xf bound_ctrl:1// 000000003384: 290302FA FF091889
	v_or_b32_dpp v130, v138, v130 row_shr:8 row_mask:0xf bank_mask:0xf bound_ctrl:1// 00000000338C: 290504FA FF09188A
	v_or_b32_dpp v131, v139, v131 row_shr:8 row_mask:0xf bank_mask:0xf bound_ctrl:1// 000000003394: 290706FA FF09188B
	v_or_b32_dpp v132, v140, v132 row_shr:8 row_mask:0xf bank_mask:0xf bound_ctrl:1// 00000000339C: 290908FA FF09188C
	v_or_b32_dpp v133, v141, v133 row_shr:8 row_mask:0xf bank_mask:0xf bound_ctrl:1// 0000000033A4: 290B0AFA FF09188D
	v_or_b32_dpp v134, v142, v134 row_shr:8 row_mask:0xf bank_mask:0xf bound_ctrl:1// 0000000033AC: 290D0CFA FF09188E
	v_or_b32_dpp v135, v143, v135 row_shr:8 row_mask:0xf bank_mask:0xf bound_ctrl:1// 0000000033B4: 290F0EFA FF09188F
	buffer_load_dword v72, v70, s[36:39], 0 offen              // 0000000033BC: E0501000 80094846
	v_cvt_f32_i32_e32 v128, v128                               // 0000000033C4: 7F000B80
	v_cvt_f32_i32_e32 v129, v129                               // 0000000033C8: 7F020B81
	v_cvt_f32_i32_e32 v130, v130                               // 0000000033CC: 7F040B82
	v_cvt_f32_i32_e32 v131, v131                               // 0000000033D0: 7F060B83
	v_cvt_f32_i32_e32 v132, v132                               // 0000000033D4: 7F080B84
	v_cvt_f32_i32_e32 v133, v133                               // 0000000033D8: 7F0A0B85
	v_cvt_f32_i32_e32 v134, v134                               // 0000000033DC: 7F0C0B86
	v_cvt_f32_i32_e32 v135, v135                               // 0000000033E0: 7F0E0B87
	v_mul_f32_e32 v128, v54, v128                              // 0000000033E4: 0B010136
	v_mul_f32_e32 v129, v54, v129                              // 0000000033E8: 0B030336
	v_mul_f32_e32 v130, v54, v130                              // 0000000033EC: 0B050536
	v_mul_f32_e32 v131, v54, v131                              // 0000000033F0: 0B070736
	v_mul_f32_e32 v132, v54, v132                              // 0000000033F4: 0B090936
	v_mul_f32_e32 v133, v54, v133                              // 0000000033F8: 0B0B0B36
	v_mul_f32_e32 v134, v54, v134                              // 0000000033FC: 0B0D0D36
	v_mul_f32_e32 v135, v54, v135                              // 000000003400: 0B0F0F36
	buffer_load_dwordx4 a[16:19], v27, s[16:19], 0 offen       // 000000003404: E05C1000 8084101B
	v_mul_f32_dpp v128, v248, v128 quad_perm:[0,0,0,0] row_mask:0xf bank_mask:0xf// 00000000340C: 0B0100FA FF0000F8
	v_mul_f32_dpp v129, v248, v129 quad_perm:[1,1,1,1] row_mask:0xf bank_mask:0xf// 000000003414: 0B0302FA FF0055F8
	v_mul_f32_dpp v130, v248, v130 quad_perm:[2,2,2,2] row_mask:0xf bank_mask:0xf// 00000000341C: 0B0504FA FF00AAF8
	v_mul_f32_dpp v131, v248, v131 quad_perm:[3,3,3,3] row_mask:0xf bank_mask:0xf// 000000003424: 0B0706FA FF00FFF8
	v_mul_f32_dpp v132, v249, v132 quad_perm:[0,0,0,0] row_mask:0xf bank_mask:0xf// 00000000342C: 0B0908FA FF0000F9
	v_mul_f32_dpp v133, v249, v133 quad_perm:[1,1,1,1] row_mask:0xf bank_mask:0xf// 000000003434: 0B0B0AFA FF0055F9
	v_mul_f32_dpp v134, v249, v134 quad_perm:[2,2,2,2] row_mask:0xf bank_mask:0xf// 00000000343C: 0B0D0CFA FF00AAF9
	v_mul_f32_dpp v135, v249, v135 quad_perm:[3,3,3,3] row_mask:0xf bank_mask:0xf// 000000003444: 0B0F0EFA FF00FFF9
	buffer_load_dwordx4 a[20:23], v27, s[16:19], 0 offen offset:1024// 00000000344C: E05C1400 8084141B
	v_mov_b32_e32 v62, v128                                    // 000000003454: 7E7C0380
	v_max3_f32 v62, v128, v129, v62                            // 000000003458: D1D3003E 04FB0380
	v_max3_f32 v62, v130, v131, v62                            // 000000003460: D1D3003E 04FB0782
	v_max3_f32 v62, v132, v133, v62                            // 000000003468: D1D3003E 04FB0B84
	v_max3_f32 v62, v134, v135, v62                            // 000000003470: D1D3003E 04FB0F86
	ds_write_b32 v11, v62 offset:16896                         // 000000003478: D81A4200 00003E0B
	buffer_load_dwordx4 a[24:27], v28, s[16:19], 0 offen       // 000000003480: E05C1000 8084181C
	v_mul_u32_u24_dpp v41, v19, v68 row_newbcast:1 row_mask:0xf bank_mask:0xf// 000000003488: 105288FA FF015113
	v_mul_u32_u24_dpp v42, v19, v68 row_newbcast:5 row_mask:0xf bank_mask:0xf// 000000003490: 105488FA FF015513
	v_mul_u32_u24_dpp v43, v19, v68 row_newbcast:9 row_mask:0xf bank_mask:0xf// 000000003498: 105688FA FF015913
	v_mul_u32_u24_dpp v44, v19, v68 row_newbcast:13 row_mask:0xf bank_mask:0xf// 0000000034A0: 105888FA FF015D13
	v_add_u32_e32 v33, v41, v7                                 // 0000000034A8: 68420F29
	v_add_u32_e32 v34, v42, v7                                 // 0000000034AC: 68440F2A
	v_add_u32_e32 v35, v43, v7                                 // 0000000034B0: 68460F2B
	v_add_u32_e32 v36, v44, v7                                 // 0000000034B4: 68480F2C
	s_waitcnt lgkmcnt(0)                                       // 0000000034B8: BF8CC07F
	s_barrier                                                  // 0000000034BC: BF8A0000
	ds_read_b32 v80, v10 offset:16896                          // 0000000034C0: D86C4200 5000000A
	ds_read_b32 v81, v10 offset:16960                          // 0000000034C8: D86C4240 5100000A
	ds_read_b32 v82, v10 offset:17024                          // 0000000034D0: D86C4280 5200000A
	ds_read_b32 v83, v10 offset:17088                          // 0000000034D8: D86C42C0 5300000A
	ds_read_b32 v84, v10 offset:17152                          // 0000000034E0: D86C4300 5400000A
	ds_read_b32 v85, v10 offset:17216                          // 0000000034E8: D86C4340 5500000A
	ds_read_b32 v86, v10 offset:17280                          // 0000000034F0: D86C4380 5600000A
	ds_read_b32 v87, v10 offset:17344                          // 0000000034F8: D86C43C0 5700000A
	ds_read_b32 v88, v10 offset:17408                          // 000000003500: D86C4400 5800000A
	ds_read_b32 v89, v10 offset:17472                          // 000000003508: D86C4440 5900000A
	ds_read_b32 v90, v10 offset:17536                          // 000000003510: D86C4480 5A00000A
	ds_read_b32 v91, v10 offset:17600                          // 000000003518: D86C44C0 5B00000A
	ds_read_b32 v92, v10 offset:17664                          // 000000003520: D86C4500 5C00000A
	ds_read_b32 v93, v10 offset:17728                          // 000000003528: D86C4540 5D00000A
	ds_read_b32 v94, v10 offset:17792                          // 000000003530: D86C4580 5E00000A
	ds_read_b32 v95, v10 offset:17856                          // 000000003538: D86C45C0 5F00000A
	buffer_load_dwordx4 a[28:31], v28, s[16:19], 0 offen offset:1024// 000000003540: E05C1400 80841C1C
	v_mul_f32_e32 v224, v63, v224                              // 000000003548: 0BC1C13F
	v_mul_f32_e32 v225, v63, v225                              // 00000000354C: 0BC3C33F
	v_mul_f32_e32 v226, v63, v226                              // 000000003550: 0BC5C53F
	v_mul_f32_e32 v227, v63, v227                              // 000000003554: 0BC7C73F
	v_or_b32_dpp v192, v196, v192 row_shr:8 row_mask:0xf bank_mask:0xf bound_ctrl:1// 000000003558: 298180FA FF0918C4
	v_or_b32_dpp v193, v197, v193 row_shr:8 row_mask:0xf bank_mask:0xf bound_ctrl:1// 000000003560: 298382FA FF0918C5
	v_or_b32_dpp v194, v198, v194 row_shr:8 row_mask:0xf bank_mask:0xf bound_ctrl:1// 000000003568: 298584FA FF0918C6
	v_or_b32_dpp v195, v199, v195 row_shr:8 row_mask:0xf bank_mask:0xf bound_ctrl:1// 000000003570: 298786FA FF0918C7
	s_waitcnt lgkmcnt(0)                                       // 000000003578: BF8CC07F
	v_max3_f32 v62, v80, v81, v62                              // 00000000357C: D1D3003E 04FAA350
	v_max3_f32 v62, v82, v83, v62                              // 000000003584: D1D3003E 04FAA752
	v_max3_f32 v62, v84, v85, v62                              // 00000000358C: D1D3003E 04FAAB54
	v_max3_f32 v62, v86, v87, v62                              // 000000003594: D1D3003E 04FAAF56
	v_max3_f32 v62, v88, v89, v62                              // 00000000359C: D1D3003E 04FAB358
	v_max3_f32 v62, v90, v91, v62                              // 0000000035A4: D1D3003E 04FAB75A
	v_max3_f32 v62, v92, v93, v62                              // 0000000035AC: D1D3003E 04FABB5C
	v_max3_f32 v62, v94, v95, v62                              // 0000000035B4: D1D3003E 04FABF5E
	buffer_load_dwordx4 a[64:67], v33, s[20:23], 0 offen       // 0000000035BC: E05C1000 80854021
	v_cmp_eq_u32_e64 s[40:41], v69, v14                        // 0000000035C4: D0CA0028 00021D45
	s_nop 1                                                    // 0000000035CC: BF800001
	v_mov_b32_dpp v41, v62 row_ror:8 row_mask:0xf bank_mask:0xf// 0000000035D0: 7E5202FA FF01283E
	v_max_f32_e32 v62, v62, v41                                // 0000000035D8: 167C533E
	v_max_f32_e32 v18, v62, v14                                // 0000000035DC: 16241D3E
	v_mul_f32_e32 v67, s64, v18                                // 0000000035E0: 0A862440
	v_fma_f32 v128, v128, s64, -v67                            // 0000000035E4: D1CB0080 850C8180
	v_fma_f32 v129, v129, s64, -v67                            // 0000000035EC: D1CB0081 850C8181
	v_fma_f32 v130, v130, s64, -v67                            // 0000000035F4: D1CB0082 850C8182
	v_fma_f32 v131, v131, s64, -v67                            // 0000000035FC: D1CB0083 850C8183
	v_fma_f32 v132, v132, s64, -v67                            // 000000003604: D1CB0084 850C8184
	v_fma_f32 v133, v133, s64, -v67                            // 00000000360C: D1CB0085 850C8185
	v_fma_f32 v134, v134, s64, -v67                            // 000000003614: D1CB0086 850C8186
	v_fma_f32 v135, v135, s64, -v67                            // 00000000361C: D1CB0087 850C8187
	buffer_load_dwordx4 a[68:71], v34, s[20:23], 0 offen       // 000000003624: E05C1000 80854422
	v_exp_f32_e32 v128, v128                                   // 00000000362C: 7F004180
	v_exp_f32_e32 v129, v129                                   // 000000003630: 7F024181
	v_exp_f32_e32 v130, v130                                   // 000000003634: 7F044182
	v_exp_f32_e32 v131, v131                                   // 000000003638: 7F064183
	v_exp_f32_e32 v132, v132                                   // 00000000363C: 7F084184
	v_exp_f32_e32 v133, v133                                   // 000000003640: 7F0A4185
	v_exp_f32_e32 v134, v134                                   // 000000003644: 7F0C4186
	v_exp_f32_e32 v135, v135                                   // 000000003648: 7F0E4187
	buffer_load_dwordx4 a[72:75], v35, s[20:23], 0 offen       // 00000000364C: E05C1000 80854823
	v_mul_f32_dpp v240, v252, v128 quad_perm:[0,0,0,0] row_mask:0xf bank_mask:0xf// 000000003654: 0BE100FA FF0000FC
	v_mul_f32_dpp v241, v252, v129 quad_perm:[1,1,1,1] row_mask:0xf bank_mask:0xf// 00000000365C: 0BE302FA FF0055FC
	v_mul_f32_dpp v242, v252, v130 quad_perm:[2,2,2,2] row_mask:0xf bank_mask:0xf// 000000003664: 0BE504FA FF00AAFC
	v_mul_f32_dpp v243, v252, v131 quad_perm:[3,3,3,3] row_mask:0xf bank_mask:0xf// 00000000366C: 0BE706FA FF00FFFC
	v_mul_f32_dpp v244, v253, v132 quad_perm:[0,0,0,0] row_mask:0xf bank_mask:0xf// 000000003674: 0BE908FA FF0000FD
	v_mul_f32_dpp v245, v253, v133 quad_perm:[1,1,1,1] row_mask:0xf bank_mask:0xf// 00000000367C: 0BEB0AFA FF0055FD
	v_mul_f32_dpp v246, v253, v134 quad_perm:[2,2,2,2] row_mask:0xf bank_mask:0xf// 000000003684: 0BED0CFA FF00AAFD
	v_mul_f32_dpp v247, v253, v135 quad_perm:[3,3,3,3] row_mask:0xf bank_mask:0xf// 00000000368C: 0BEF0EFA FF00FFFD
	v_mov_b32_e32 v62, 0x358637bd                              // 000000003694: 7E7C02FF 358637BD
	v_max3_f32 v62, |v240|, |v241|, v62                        // 00000000369C: D1D3033E 04FBE3F0
	v_max3_f32 v62, |v242|, |v243|, v62                        // 0000000036A4: D1D3033E 04FBE7F2
	v_max3_f32 v62, |v244|, |v245|, v62                        // 0000000036AC: D1D3033E 04FBEBF4
	v_max3_f32 v62, |v246|, |v247|, v62                        // 0000000036B4: D1D3033E 04FBEFF6
	buffer_load_dwordx4 a[76:79], v36, s[20:23], 0 offen       // 0000000036BC: E05C1000 80854C24
	ds_write_b32 v11, v62 offset:20992                         // 0000000036C4: D81A5200 00003E0B
	v_sub_f32_e32 v63, v14, v18                                // 0000000036CC: 047E250E
	v_cndmask_b32_e64 v63, v63, 0, s[40:41]                    // 0000000036D0: D100003F 00A1013F
	v_mov_b32_e32 v14, v18                                     // 0000000036D8: 7E1C0312
	v_mul_f32_e32 v63, s64, v63                                // 0000000036DC: 0A7E7E40
	v_exp_f32_e32 v63, v63                                     // 0000000036E0: 7E7E413F
	s_waitcnt lgkmcnt(0)                                       // 0000000036E4: BF8CC07F
	s_barrier                                                  // 0000000036E8: BF8A0000
	ds_read_b32 v80, v10 offset:20992                          // 0000000036EC: D86C5200 5000000A
	ds_read_b32 v81, v10 offset:21056                          // 0000000036F4: D86C5240 5100000A
	ds_read_b32 v82, v10 offset:21120                          // 0000000036FC: D86C5280 5200000A
	ds_read_b32 v83, v10 offset:21184                          // 000000003704: D86C52C0 5300000A
	ds_read_b32 v84, v10 offset:21248                          // 00000000370C: D86C5300 5400000A
	ds_read_b32 v85, v10 offset:21312                          // 000000003714: D86C5340 5500000A
	ds_read_b32 v86, v10 offset:21376                          // 00000000371C: D86C5380 5600000A
	ds_read_b32 v87, v10 offset:21440                          // 000000003724: D86C53C0 5700000A
	ds_read_b32 v88, v10 offset:21504                          // 00000000372C: D86C5400 5800000A
	ds_read_b32 v89, v10 offset:21568                          // 000000003734: D86C5440 5900000A
	ds_read_b32 v90, v10 offset:21632                          // 00000000373C: D86C5480 5A00000A
	ds_read_b32 v91, v10 offset:21696                          // 000000003744: D86C54C0 5B00000A
	ds_read_b32 v92, v10 offset:21760                          // 00000000374C: D86C5500 5C00000A
	ds_read_b32 v93, v10 offset:21824                          // 000000003754: D86C5540 5D00000A
	ds_read_b32 v94, v10 offset:21888                          // 00000000375C: D86C5580 5E00000A
	ds_read_b32 v95, v10 offset:21952                          // 000000003764: D86C55C0 5F00000A
	v_mul_f32_e32 v47, v63, v47                                // 00000000376C: 0A5E5F3F
	v_mov_b32_e32 v51, v128                                    // 000000003770: 7E660380
	v_add_f32_e32 v51, v129, v51                               // 000000003774: 02666781
	v_add_f32_e32 v51, v130, v51                               // 000000003778: 02666782
	v_add_f32_e32 v51, v131, v51                               // 00000000377C: 02666783
	v_add_f32_e32 v51, v132, v51                               // 000000003780: 02666784
	v_add_f32_e32 v51, v133, v51                               // 000000003784: 02666785
	;; [unrolled: 1-line block ×3, first 2 shown]
	v_add_f32_e32 v51, v135, v51                               // 00000000378C: 02666787
	v_add_f32_e32 v47, v51, v47                                // 000000003790: 025E5F33
	s_waitcnt lgkmcnt(0)                                       // 000000003794: BF8CC07F
	v_max3_f32 v62, |v80|, |v81|, v62                          // 000000003798: D1D3033E 04FAA350
	v_max3_f32 v62, |v82|, |v83|, v62                          // 0000000037A0: D1D3033E 04FAA752
	v_max3_f32 v62, |v84|, |v85|, v62                          // 0000000037A8: D1D3033E 04FAAB54
	v_max3_f32 v62, |v86|, |v87|, v62                          // 0000000037B0: D1D3033E 04FAAF56
	v_max3_f32 v62, |v88|, |v89|, v62                          // 0000000037B8: D1D3033E 04FAB358
	v_max3_f32 v62, |v90|, |v91|, v62                          // 0000000037C0: D1D3033E 04FAB75A
	v_max3_f32 v62, |v92|, |v93|, v62                          // 0000000037C8: D1D3033E 04FABB5C
	v_max3_f32 v62, |v94|, |v95|, v62                          // 0000000037D0: D1D3033E 04FABF5E
	s_nop 2                                                    // 0000000037D8: BF800002
	v_mov_b32_dpp v41, v62 row_ror:8 row_mask:0xf bank_mask:0xf// 0000000037DC: 7E5202FA FF01283E
	v_max_f32_e32 v62, v62, v41                                // 0000000037E4: 167C533E
	v_rcp_f32_e32 v62, v62                                     // 0000000037E8: 7E7C453E
	s_nop 1                                                    // 0000000037EC: BF800001
	v_mul_f32_e32 v62, 0x42fe0000, v62                         // 0000000037F0: 0A7C7CFF 42FE0000
	v_mul_f32_e32 v128, v62, v240                              // 0000000037F8: 0B01E13E
	v_mul_f32_e32 v129, v62, v241                              // 0000000037FC: 0B03E33E
	v_mul_f32_e32 v130, v62, v242                              // 000000003800: 0B05E53E
	v_mul_f32_e32 v131, v62, v243                              // 000000003804: 0B07E73E
	v_mul_f32_e32 v132, v62, v244                              // 000000003808: 0B09E93E
	v_mul_f32_e32 v133, v62, v245                              // 00000000380C: 0B0BEB3E
	v_mul_f32_e32 v134, v62, v246                              // 000000003810: 0B0DED3E
	v_mul_f32_e32 v135, v62, v247                              // 000000003814: 0B0FEF3E
	v_cvt_i32_f32_e32 v128, v128                               // 000000003818: 7F001180
	v_cvt_i32_f32_e32 v129, v129                               // 00000000381C: 7F021181
	v_cvt_i32_f32_e32 v130, v130                               // 000000003820: 7F041182
	v_cvt_i32_f32_e32 v131, v131                               // 000000003824: 7F061183
	v_cvt_i32_f32_e32 v132, v132                               // 000000003828: 7F081184
	v_cvt_i32_f32_e32 v133, v133                               // 00000000382C: 7F0A1185
	v_cvt_i32_f32_e32 v134, v134                               // 000000003830: 7F0C1186
	v_cvt_i32_f32_e32 v135, v135                               // 000000003834: 7F0E1187
	v_perm_b32 v128, v129, v128, s53                           // 000000003838: D1ED0080 00D70181
	v_perm_b32 v128, v130, v128, s54                           // 000000003840: D1ED0080 00DB0182
	v_perm_b32 v128, v131, v128, s55                           // 000000003848: D1ED0080 00DF0183
	v_perm_b32 v129, v133, v132, s53                           // 000000003850: D1ED0081 00D70985
	v_perm_b32 v129, v134, v129, s54                           // 000000003858: D1ED0081 00DB0386
	v_perm_b32 v129, v135, v129, s55                           // 000000003860: D1ED0081 00DF0387
	ds_write_b32 v13, v128 offset:25088                        // 000000003868: D81A6200 0000800D
	ds_write_b32 v13, v129 offset:26112                        // 000000003870: D81A6600 0000810D
	v_cvt_f32_i32_e32 v192, v192                               // 000000003878: 7F800BC0
	v_cvt_f32_i32_e32 v193, v193                               // 00000000387C: 7F820BC1
	v_cvt_f32_i32_e32 v194, v194                               // 000000003880: 7F840BC2
	v_cvt_f32_i32_e32 v195, v195                               // 000000003884: 7F860BC3
	v_mul_f32_e32 v192, v58, v192                              // 000000003888: 0B81813A
	v_mul_f32_e32 v193, v58, v193                              // 00000000388C: 0B83833A
	v_mul_f32_e32 v194, v58, v194                              // 000000003890: 0B85853A
	v_mul_f32_e32 v195, v58, v195                              // 000000003894: 0B87873A
	v_rcp_f32_e32 v58, v62                                     // 000000003898: 7E74453E
	s_waitcnt lgkmcnt(0)                                       // 00000000389C: BF8CC07F
	s_barrier                                                  // 0000000038A0: BF8A0000
	ds_read_b64 v[128:129], v12 offset:25088                   // 0000000038A4: D8EC6200 8000000C
	ds_read_b64 v[130:131], v12 offset:25216                   // 0000000038AC: D8EC6280 8200000C
	ds_read_b64 v[132:133], v12 offset:26112                   // 0000000038B4: D8EC6600 8400000C
	ds_read_b64 v[134:135], v12 offset:26240                   // 0000000038BC: D8EC6680 8600000C
	v_add_f32_e32 v224, v224, v192                             // 0000000038C4: 03C181E0
	v_add_f32_e32 v225, v225, v193                             // 0000000038C8: 03C383E1
	v_add_f32_e32 v226, v226, v194                             // 0000000038CC: 03C585E2
	v_add_f32_e32 v227, v227, v195                             // 0000000038D0: 03C787E3
	s_waitcnt lgkmcnt(3)                                       // 0000000038D4: BF8CC37F
	v_mov_b32_dpp v136, v128 row_shl:8 row_mask:0xf bank_mask:0xf bound_ctrl:1// 0000000038D8: 7F1002FA FF090880
	v_and_b32_e32 v128, v128, v9                               // 0000000038E0: 27001380
	v_mov_b32_dpp v137, v129 row_shl:8 row_mask:0xf bank_mask:0xf bound_ctrl:1// 0000000038E4: 7F1202FA FF090881
	v_and_b32_e32 v129, v129, v9                               // 0000000038EC: 27021381
	s_waitcnt lgkmcnt(2)                                       // 0000000038F0: BF8CC27F
	v_mov_b32_dpp v138, v130 row_shl:8 row_mask:0xf bank_mask:0xf bound_ctrl:1// 0000000038F4: 7F1402FA FF090882
	v_and_b32_e32 v130, v130, v9                               // 0000000038FC: 27041382
	v_mov_b32_dpp v139, v131 row_shl:8 row_mask:0xf bank_mask:0xf bound_ctrl:1// 000000003900: 7F1602FA FF090883
	v_and_b32_e32 v131, v131, v9                               // 000000003908: 27061383
	s_waitcnt lgkmcnt(1)                                       // 00000000390C: BF8CC17F
	v_mov_b32_dpp v140, v132 row_shl:8 row_mask:0xf bank_mask:0xf bound_ctrl:1// 000000003910: 7F1802FA FF090884
	v_and_b32_e32 v132, v132, v9                               // 000000003918: 27081384
	v_mov_b32_dpp v141, v133 row_shl:8 row_mask:0xf bank_mask:0xf bound_ctrl:1// 00000000391C: 7F1A02FA FF090885
	v_and_b32_e32 v133, v133, v9                               // 000000003924: 270A1385
	s_waitcnt lgkmcnt(0)                                       // 000000003928: BF8CC07F
	v_mov_b32_dpp v142, v134 row_shl:8 row_mask:0xf bank_mask:0xf bound_ctrl:1// 00000000392C: 7F1C02FA FF090886
	v_and_b32_e32 v134, v134, v9                               // 000000003934: 270C1386
	v_mov_b32_dpp v143, v135 row_shl:8 row_mask:0xf bank_mask:0xf bound_ctrl:1// 000000003938: 7F1E02FA FF090887
	v_and_b32_e32 v135, v135, v9                               // 000000003940: 270E1387
	s_waitcnt vmcnt(15)                                        // 000000003944: BF8C0F7F
	v_mfma_i32_16x16x32_i8 v[192:195], a[96:97], v[128:129], 0 // 000000003948: D3D700C0 0A030160
	v_mfma_i32_16x16x32_i8 v[192:195], a[98:99], v[130:131], v[192:195]// 000000003950: D3D700C0 0F030562
	buffer_load_dwordx4 a[80:83], v33, s[20:23], 0 offen offset:1024// 000000003958: E05C1400 80855021
	v_mfma_i32_16x16x32_i8 v[192:195], a[100:101], v[132:133], v[192:195]// 000000003960: D3D700C0 0F030964
	v_mfma_i32_16x16x32_i8 v[192:195], a[102:103], v[134:135], v[192:195]// 000000003968: D3D700C0 0F030D66
	v_mfma_i32_16x16x32_i8 v[192:195], a[104:105], v[136:137], v[192:195]// 000000003970: D3D700C0 0F031168
	v_mfma_i32_16x16x32_i8 v[192:195], a[106:107], v[138:139], v[192:195]// 000000003978: D3D700C0 0F03156A
	buffer_load_dwordx4 a[84:87], v34, s[20:23], 0 offen offset:1024// 000000003980: E05C1400 80855422
	v_mfma_i32_16x16x32_i8 v[192:195], a[108:109], v[140:141], v[192:195]// 000000003988: D3D700C0 0F03196C
	v_mfma_i32_16x16x32_i8 v[192:195], a[110:111], v[142:143], v[192:195]// 000000003990: D3D700C0 0F031D6E
	v_mfma_i32_16x16x32_i8 v[196:199], a[112:113], v[128:129], 0// 000000003998: D3D700C4 0A030170
	v_mfma_i32_16x16x32_i8 v[196:199], a[114:115], v[130:131], v[196:199]// 0000000039A0: D3D700C4 0F130572
	buffer_load_dwordx4 a[88:91], v35, s[20:23], 0 offen offset:1024// 0000000039A8: E05C1400 80855823
	v_mfma_i32_16x16x32_i8 v[196:199], a[116:117], v[132:133], v[196:199]// 0000000039B0: D3D700C4 0F130974
	v_mfma_i32_16x16x32_i8 v[196:199], a[118:119], v[134:135], v[196:199]// 0000000039B8: D3D700C4 0F130D76
	v_mfma_i32_16x16x32_i8 v[196:199], a[120:121], v[136:137], v[196:199]// 0000000039C0: D3D700C4 0F131178
	v_mfma_i32_16x16x32_i8 v[196:199], a[122:123], v[138:139], v[196:199]// 0000000039C8: D3D700C4 0F13157A
	buffer_load_dwordx4 a[92:95], v36, s[20:23], 0 offen offset:1024// 0000000039D0: E05C1400 80855C24
	v_mfma_i32_16x16x32_i8 v[196:199], a[124:125], v[140:141], v[196:199]// 0000000039D8: D3D700C4 0F13197C
	s_lshr_b32 s57, s70, 4                                     // 0000000039E0: 8F398446
	s_add_u32 s57, 48, s57                                     // 0000000039E4: 803939B0
	v_mfma_i32_16x16x32_i8 v[196:199], a[126:127], v[142:143], v[196:199]// 0000000039E8: D3D700C4 0F131D7E
	s_cmp_ge_u32 s57, s73                                      // 0000000039F0: BF094939
	s_cselect_b32 s56, 0, s56                                  // 0000000039F4: 85383880
	v_add_u32_e32 v1, s56, v1                                  // 0000000039F8: 68020238
	s_addk_i32 s70, 0x100                                      // 0000000039FC: B7460100
	s_cmp_lt_i32 s70, s71                                      // 000000003A00: BF044746
	s_cbranch_scc0 label_0603                                  // 000000003A04: BF840001
	s_branch label_021E                                        // 000000003A08: BF82FC1B

0000000000003a0c <label_0603>:
	s_nop 0                                                    // 000000003A0C: BF800000
	s_nop 0                                                    // 000000003A10: BF800000
	s_branch label_09EB                                        // 000000003A14: BF8203E5

0000000000003a18 <label_0606>:
	s_waitcnt vmcnt(8) lgkmcnt(0)                              // 000000003A18: BF8C0078
	v_mul_u32_u24_dpp v41, v20, v68 row_newbcast:0 row_mask:0xf bank_mask:0xf// 000000003A1C: 105288FA FF015014
	v_mul_u32_u24_dpp v42, v20, v68 row_newbcast:4 row_mask:0xf bank_mask:0xf// 000000003A24: 105488FA FF015414
	v_mul_u32_u24_dpp v43, v20, v68 row_newbcast:8 row_mask:0xf bank_mask:0xf// 000000003A2C: 105688FA FF015814
	v_mul_u32_u24_dpp v44, v20, v68 row_newbcast:12 row_mask:0xf bank_mask:0xf// 000000003A34: 105888FA FF015C14
	v_add_u32_e32 v29, v41, v6                                 // 000000003A3C: 683A0D29
	v_add_u32_e32 v30, v42, v6                                 // 000000003A40: 683C0D2A
	v_add_u32_e32 v31, v43, v6                                 // 000000003A44: 683E0D2B
	v_add_u32_e32 v32, v44, v6                                 // 000000003A48: 68400D2C
	v_mul_u32_u24_dpp v41, v20, v78 quad_perm:[0,0,0,0] row_mask:0xf bank_mask:0xf// 000000003A4C: 10529CFA FF000014
	v_add_u32_e32 v3, v41, v74                                 // 000000003A54: 68069529
	v_mul_u32_u24_dpp v41, v20, v78 quad_perm:[0,0,0,0] row_mask:0xf bank_mask:0xf// 000000003A58: 10529CFA FF000014
	v_add_u32_e32 v71, v41, v75                                // 000000003A60: 688E9729
	v_mfma_i32_16x16x32_i8 v[128:131], a[0:1], v[96:97], 0     // 000000003A64: D3D70080 0A02C100
	buffer_load_dwordx4 a[32:35], v29, s[16:19], 0 offen       // 000000003A6C: E05C1000 8084201D
	v_mfma_i32_16x16x32_i8 v[128:131], a[2:3], v[98:99], v[128:131]// 000000003A74: D3D70080 0E02C502
	v_mfma_i32_16x16x32_i8 v[128:131], a[4:5], v[100:101], v[128:131]// 000000003A7C: D3D70080 0E02C904
	buffer_load_dword v19, v1, s[24:27], 0 offen               // 000000003A84: E0501000 80061301
	v_mfma_i32_16x16x32_i8 v[128:131], a[6:7], v[102:103], v[128:131]// 000000003A8C: D3D70080 0E02CD06
	v_mfma_i32_16x16x32_i8 v[132:135], a[8:9], v[96:97], 0     // 000000003A94: D3D70084 0A02C108
	buffer_load_dwordx4 a[36:39], v29, s[16:19], 0 offen offset:1024// 000000003A9C: E05C1400 8084241D
	v_mfma_i32_16x16x32_i8 v[132:135], a[10:11], v[98:99], v[132:135]// 000000003AA4: D3D70084 0E12C50A
	v_mfma_i32_16x16x32_i8 v[132:135], a[12:13], v[100:101], v[132:135]// 000000003AAC: D3D70084 0E12C90C
	v_mfma_i32_16x16x32_i8 v[132:135], a[14:15], v[102:103], v[132:135]// 000000003AB4: D3D70084 0E12CD0E
	v_mfma_i32_16x16x32_i8 v[136:139], a[16:17], v[96:97], 0   // 000000003ABC: D3D70088 0A02C110
	buffer_load_dwordx4 a[40:43], v30, s[16:19], 0 offen       // 000000003AC4: E05C1000 8084281E
	v_mfma_i32_16x16x32_i8 v[136:139], a[18:19], v[98:99], v[136:139]// 000000003ACC: D3D70088 0E22C512
	v_mfma_i32_16x16x32_i8 v[136:139], a[20:21], v[100:101], v[136:139]// 000000003AD4: D3D70088 0E22C914
	v_mfma_i32_16x16x32_i8 v[136:139], a[22:23], v[102:103], v[136:139]// 000000003ADC: D3D70088 0E22CD16
	v_mfma_i32_16x16x32_i8 v[140:143], a[24:25], v[96:97], 0   // 000000003AE4: D3D7008C 0A02C118
	buffer_load_dwordx4 a[44:47], v30, s[16:19], 0 offen offset:1024// 000000003AEC: E05C1400 80842C1E
	v_mfma_i32_16x16x32_i8 v[140:143], a[26:27], v[98:99], v[140:143]// 000000003AF4: D3D7008C 0E32C51A
	v_mfma_i32_16x16x32_i8 v[140:143], a[28:29], v[100:101], v[140:143]// 000000003AFC: D3D7008C 0E32C91C
	v_mfma_i32_16x16x32_i8 v[140:143], a[30:31], v[102:103], v[140:143]// 000000003B04: D3D7008C 0E32CD1E
	buffer_load_dword v53, v3, s[32:35], 0 offen               // 000000003B0C: E0501000 80083503
	v_mov_b32_dpp v41, v52 row_shr:4 row_mask:0xf bank_mask:0xf// 000000003B14: 7E5202FA FF011434
	v_mov_b32_dpp v42, v52 row_shl:4 row_mask:0xf bank_mask:0xf// 000000003B1C: 7E5402FA FF010434
	v_cndmask_b32_e64 v248, v52, v41, s[44:45]                 // 000000003B24: D10000F8 00B25334
	v_cndmask_b32_e64 v249, v42, v52, s[44:45]                 // 000000003B2C: D10000F9 00B2692A
	v_mov_b32_dpp v41, v72 row_shr:4 row_mask:0xf bank_mask:0xf// 000000003B34: 7E5202FA FF011448
	v_mov_b32_dpp v42, v72 row_shl:4 row_mask:0xf bank_mask:0xf// 000000003B3C: 7E5402FA FF010448
	v_cndmask_b32_e64 v252, v72, v41, s[44:45]                 // 000000003B44: D10000FC 00B25348
	v_cndmask_b32_e64 v253, v42, v72, s[44:45]                 // 000000003B4C: D10000FD 00B2912A
	v_or_b32_dpp v128, v136, v128 row_shr:8 row_mask:0xf bank_mask:0xf bound_ctrl:1// 000000003B54: 290100FA FF091888
	v_or_b32_dpp v129, v137, v129 row_shr:8 row_mask:0xf bank_mask:0xf bound_ctrl:1// 000000003B5C: 290302FA FF091889
	v_or_b32_dpp v130, v138, v130 row_shr:8 row_mask:0xf bank_mask:0xf bound_ctrl:1// 000000003B64: 290504FA FF09188A
	v_or_b32_dpp v131, v139, v131 row_shr:8 row_mask:0xf bank_mask:0xf bound_ctrl:1// 000000003B6C: 290706FA FF09188B
	v_or_b32_dpp v132, v140, v132 row_shr:8 row_mask:0xf bank_mask:0xf bound_ctrl:1// 000000003B74: 290908FA FF09188C
	v_or_b32_dpp v133, v141, v133 row_shr:8 row_mask:0xf bank_mask:0xf bound_ctrl:1// 000000003B7C: 290B0AFA FF09188D
	v_or_b32_dpp v134, v142, v134 row_shr:8 row_mask:0xf bank_mask:0xf bound_ctrl:1// 000000003B84: 290D0CFA FF09188E
	v_or_b32_dpp v135, v143, v135 row_shr:8 row_mask:0xf bank_mask:0xf bound_ctrl:1// 000000003B8C: 290F0EFA FF09188F
	buffer_load_dword v73, v71, s[36:39], 0 offen              // 000000003B94: E0501000 80094947
	v_cvt_f32_i32_e32 v128, v128                               // 000000003B9C: 7F000B80
	v_cvt_f32_i32_e32 v129, v129                               // 000000003BA0: 7F020B81
	v_cvt_f32_i32_e32 v130, v130                               // 000000003BA4: 7F040B82
	v_cvt_f32_i32_e32 v131, v131                               // 000000003BA8: 7F060B83
	v_cvt_f32_i32_e32 v132, v132                               // 000000003BAC: 7F080B84
	v_cvt_f32_i32_e32 v133, v133                               // 000000003BB0: 7F0A0B85
	v_cvt_f32_i32_e32 v134, v134                               // 000000003BB4: 7F0C0B86
	v_cvt_f32_i32_e32 v135, v135                               // 000000003BB8: 7F0E0B87
	v_mul_f32_e32 v128, v54, v128                              // 000000003BBC: 0B010136
	v_mul_f32_e32 v129, v54, v129                              // 000000003BC0: 0B030336
	v_mul_f32_e32 v130, v54, v130                              // 000000003BC4: 0B050536
	v_mul_f32_e32 v131, v54, v131                              // 000000003BC8: 0B070736
	v_mul_f32_e32 v132, v54, v132                              // 000000003BCC: 0B090936
	v_mul_f32_e32 v133, v54, v133                              // 000000003BD0: 0B0B0B36
	v_mul_f32_e32 v134, v54, v134                              // 000000003BD4: 0B0D0D36
	v_mul_f32_e32 v135, v54, v135                              // 000000003BD8: 0B0F0F36
	buffer_load_dwordx4 a[48:51], v31, s[16:19], 0 offen       // 000000003BDC: E05C1000 8084301F
	v_mul_f32_dpp v128, v248, v128 quad_perm:[0,0,0,0] row_mask:0xf bank_mask:0xf// 000000003BE4: 0B0100FA FF0000F8
	v_mul_f32_dpp v129, v248, v129 quad_perm:[1,1,1,1] row_mask:0xf bank_mask:0xf// 000000003BEC: 0B0302FA FF0055F8
	v_mul_f32_dpp v130, v248, v130 quad_perm:[2,2,2,2] row_mask:0xf bank_mask:0xf// 000000003BF4: 0B0504FA FF00AAF8
	v_mul_f32_dpp v131, v248, v131 quad_perm:[3,3,3,3] row_mask:0xf bank_mask:0xf// 000000003BFC: 0B0706FA FF00FFF8
	v_mul_f32_dpp v132, v249, v132 quad_perm:[0,0,0,0] row_mask:0xf bank_mask:0xf// 000000003C04: 0B0908FA FF0000F9
	v_mul_f32_dpp v133, v249, v133 quad_perm:[1,1,1,1] row_mask:0xf bank_mask:0xf// 000000003C0C: 0B0B0AFA FF0055F9
	v_mul_f32_dpp v134, v249, v134 quad_perm:[2,2,2,2] row_mask:0xf bank_mask:0xf// 000000003C14: 0B0D0CFA FF00AAF9
	v_mul_f32_dpp v135, v249, v135 quad_perm:[3,3,3,3] row_mask:0xf bank_mask:0xf// 000000003C1C: 0B0F0EFA FF00FFF9
	buffer_load_dwordx4 a[52:55], v31, s[16:19], 0 offen offset:1024// 000000003C24: E05C1400 8084341F
	v_mov_b32_e32 v62, v128                                    // 000000003C2C: 7E7C0380
	v_max3_f32 v62, v128, v129, v62                            // 000000003C30: D1D3003E 04FB0380
	v_max3_f32 v62, v130, v131, v62                            // 000000003C38: D1D3003E 04FB0782
	v_max3_f32 v62, v132, v133, v62                            // 000000003C40: D1D3003E 04FB0B84
	v_max3_f32 v62, v134, v135, v62                            // 000000003C48: D1D3003E 04FB0F86
	ds_write_b32 v11, v62 offset:16896                         // 000000003C50: D81A4200 00003E0B
	buffer_load_dwordx4 a[56:59], v32, s[16:19], 0 offen       // 000000003C58: E05C1000 80843820
	v_mul_u32_u24_dpp v41, v20, v68 row_newbcast:1 row_mask:0xf bank_mask:0xf// 000000003C60: 105288FA FF015114
	v_mul_u32_u24_dpp v42, v20, v68 row_newbcast:5 row_mask:0xf bank_mask:0xf// 000000003C68: 105488FA FF015514
	v_mul_u32_u24_dpp v43, v20, v68 row_newbcast:9 row_mask:0xf bank_mask:0xf// 000000003C70: 105688FA FF015914
	v_mul_u32_u24_dpp v44, v20, v68 row_newbcast:13 row_mask:0xf bank_mask:0xf// 000000003C78: 105888FA FF015D14
	v_add_u32_e32 v37, v41, v7                                 // 000000003C80: 684A0F29
	v_add_u32_e32 v38, v42, v7                                 // 000000003C84: 684C0F2A
	v_add_u32_e32 v39, v43, v7                                 // 000000003C88: 684E0F2B
	v_add_u32_e32 v40, v44, v7                                 // 000000003C8C: 68500F2C
	s_waitcnt lgkmcnt(0)                                       // 000000003C90: BF8CC07F
	s_barrier                                                  // 000000003C94: BF8A0000
	ds_read_b32 v80, v10 offset:16896                          // 000000003C98: D86C4200 5000000A
	ds_read_b32 v81, v10 offset:16960                          // 000000003CA0: D86C4240 5100000A
	ds_read_b32 v82, v10 offset:17024                          // 000000003CA8: D86C4280 5200000A
	ds_read_b32 v83, v10 offset:17088                          // 000000003CB0: D86C42C0 5300000A
	ds_read_b32 v84, v10 offset:17152                          // 000000003CB8: D86C4300 5400000A
	ds_read_b32 v85, v10 offset:17216                          // 000000003CC0: D86C4340 5500000A
	ds_read_b32 v86, v10 offset:17280                          // 000000003CC8: D86C4380 5600000A
	ds_read_b32 v87, v10 offset:17344                          // 000000003CD0: D86C43C0 5700000A
	ds_read_b32 v88, v10 offset:17408                          // 000000003CD8: D86C4400 5800000A
	ds_read_b32 v89, v10 offset:17472                          // 000000003CE0: D86C4440 5900000A
	ds_read_b32 v90, v10 offset:17536                          // 000000003CE8: D86C4480 5A00000A
	ds_read_b32 v91, v10 offset:17600                          // 000000003CF0: D86C44C0 5B00000A
	ds_read_b32 v92, v10 offset:17664                          // 000000003CF8: D86C4500 5C00000A
	ds_read_b32 v93, v10 offset:17728                          // 000000003D00: D86C4540 5D00000A
	ds_read_b32 v94, v10 offset:17792                          // 000000003D08: D86C4580 5E00000A
	ds_read_b32 v95, v10 offset:17856                          // 000000003D10: D86C45C0 5F00000A
	buffer_load_dwordx4 a[60:63], v32, s[16:19], 0 offen offset:1024// 000000003D18: E05C1400 80843C20
	v_mul_f32_e32 v224, v63, v224                              // 000000003D20: 0BC1C13F
	v_mul_f32_e32 v225, v63, v225                              // 000000003D24: 0BC3C33F
	v_mul_f32_e32 v226, v63, v226                              // 000000003D28: 0BC5C53F
	v_mul_f32_e32 v227, v63, v227                              // 000000003D2C: 0BC7C73F
	v_or_b32_dpp v192, v196, v192 row_shr:8 row_mask:0xf bank_mask:0xf bound_ctrl:1// 000000003D30: 298180FA FF0918C4
	v_or_b32_dpp v193, v197, v193 row_shr:8 row_mask:0xf bank_mask:0xf bound_ctrl:1// 000000003D38: 298382FA FF0918C5
	v_or_b32_dpp v194, v198, v194 row_shr:8 row_mask:0xf bank_mask:0xf bound_ctrl:1// 000000003D40: 298584FA FF0918C6
	v_or_b32_dpp v195, v199, v195 row_shr:8 row_mask:0xf bank_mask:0xf bound_ctrl:1// 000000003D48: 298786FA FF0918C7
	s_waitcnt lgkmcnt(0)                                       // 000000003D50: BF8CC07F
	v_max3_f32 v62, v80, v81, v62                              // 000000003D54: D1D3003E 04FAA350
	v_max3_f32 v62, v82, v83, v62                              // 000000003D5C: D1D3003E 04FAA752
	v_max3_f32 v62, v84, v85, v62                              // 000000003D64: D1D3003E 04FAAB54
	v_max3_f32 v62, v86, v87, v62                              // 000000003D6C: D1D3003E 04FAAF56
	v_max3_f32 v62, v88, v89, v62                              // 000000003D74: D1D3003E 04FAB358
	v_max3_f32 v62, v90, v91, v62                              // 000000003D7C: D1D3003E 04FAB75A
	v_max3_f32 v62, v92, v93, v62                              // 000000003D84: D1D3003E 04FABB5C
	v_max3_f32 v62, v94, v95, v62                              // 000000003D8C: D1D3003E 04FABF5E
	buffer_load_dwordx4 a[96:99], v37, s[20:23], 0 offen       // 000000003D94: E05C1000 80856025
	v_cmp_eq_u32_e64 s[40:41], v69, v14                        // 000000003D9C: D0CA0028 00021D45
	s_nop 1                                                    // 000000003DA4: BF800001
	v_mov_b32_dpp v41, v62 row_ror:8 row_mask:0xf bank_mask:0xf// 000000003DA8: 7E5202FA FF01283E
	v_max_f32_e32 v62, v62, v41                                // 000000003DB0: 167C533E
	v_max_f32_e32 v18, v62, v14                                // 000000003DB4: 16241D3E
	v_mul_f32_e32 v67, s64, v18                                // 000000003DB8: 0A862440
	v_fma_f32 v128, v128, s64, -v67                            // 000000003DBC: D1CB0080 850C8180
	v_fma_f32 v129, v129, s64, -v67                            // 000000003DC4: D1CB0081 850C8181
	v_fma_f32 v130, v130, s64, -v67                            // 000000003DCC: D1CB0082 850C8182
	v_fma_f32 v131, v131, s64, -v67                            // 000000003DD4: D1CB0083 850C8183
	v_fma_f32 v132, v132, s64, -v67                            // 000000003DDC: D1CB0084 850C8184
	v_fma_f32 v133, v133, s64, -v67                            // 000000003DE4: D1CB0085 850C8185
	v_fma_f32 v134, v134, s64, -v67                            // 000000003DEC: D1CB0086 850C8186
	v_fma_f32 v135, v135, s64, -v67                            // 000000003DF4: D1CB0087 850C8187
	buffer_load_dwordx4 a[100:103], v38, s[20:23], 0 offen     // 000000003DFC: E05C1000 80856426
	v_exp_f32_e32 v128, v128                                   // 000000003E04: 7F004180
	v_exp_f32_e32 v129, v129                                   // 000000003E08: 7F024181
	v_exp_f32_e32 v130, v130                                   // 000000003E0C: 7F044182
	v_exp_f32_e32 v131, v131                                   // 000000003E10: 7F064183
	v_exp_f32_e32 v132, v132                                   // 000000003E14: 7F084184
	v_exp_f32_e32 v133, v133                                   // 000000003E18: 7F0A4185
	v_exp_f32_e32 v134, v134                                   // 000000003E1C: 7F0C4186
	v_exp_f32_e32 v135, v135                                   // 000000003E20: 7F0E4187
	buffer_load_dwordx4 a[104:107], v39, s[20:23], 0 offen     // 000000003E24: E05C1000 80856827
	v_mul_f32_dpp v240, v252, v128 quad_perm:[0,0,0,0] row_mask:0xf bank_mask:0xf// 000000003E2C: 0BE100FA FF0000FC
	v_mul_f32_dpp v241, v252, v129 quad_perm:[1,1,1,1] row_mask:0xf bank_mask:0xf// 000000003E34: 0BE302FA FF0055FC
	v_mul_f32_dpp v242, v252, v130 quad_perm:[2,2,2,2] row_mask:0xf bank_mask:0xf// 000000003E3C: 0BE504FA FF00AAFC
	v_mul_f32_dpp v243, v252, v131 quad_perm:[3,3,3,3] row_mask:0xf bank_mask:0xf// 000000003E44: 0BE706FA FF00FFFC
	v_mul_f32_dpp v244, v253, v132 quad_perm:[0,0,0,0] row_mask:0xf bank_mask:0xf// 000000003E4C: 0BE908FA FF0000FD
	v_mul_f32_dpp v245, v253, v133 quad_perm:[1,1,1,1] row_mask:0xf bank_mask:0xf// 000000003E54: 0BEB0AFA FF0055FD
	v_mul_f32_dpp v246, v253, v134 quad_perm:[2,2,2,2] row_mask:0xf bank_mask:0xf// 000000003E5C: 0BED0CFA FF00AAFD
	v_mul_f32_dpp v247, v253, v135 quad_perm:[3,3,3,3] row_mask:0xf bank_mask:0xf// 000000003E64: 0BEF0EFA FF00FFFD
	v_mov_b32_e32 v62, 0x358637bd                              // 000000003E6C: 7E7C02FF 358637BD
	v_max3_f32 v62, |v240|, |v241|, v62                        // 000000003E74: D1D3033E 04FBE3F0
	v_max3_f32 v62, |v242|, |v243|, v62                        // 000000003E7C: D1D3033E 04FBE7F2
	v_max3_f32 v62, |v244|, |v245|, v62                        // 000000003E84: D1D3033E 04FBEBF4
	v_max3_f32 v62, |v246|, |v247|, v62                        // 000000003E8C: D1D3033E 04FBEFF6
	buffer_load_dwordx4 a[108:111], v40, s[20:23], 0 offen     // 000000003E94: E05C1000 80856C28
	ds_write_b32 v11, v62 offset:20992                         // 000000003E9C: D81A5200 00003E0B
	v_sub_f32_e32 v63, v14, v18                                // 000000003EA4: 047E250E
	v_cndmask_b32_e64 v63, v63, 0, s[40:41]                    // 000000003EA8: D100003F 00A1013F
	v_mov_b32_e32 v14, v18                                     // 000000003EB0: 7E1C0312
	v_mul_f32_e32 v63, s64, v63                                // 000000003EB4: 0A7E7E40
	v_exp_f32_e32 v63, v63                                     // 000000003EB8: 7E7E413F
	s_waitcnt lgkmcnt(0)                                       // 000000003EBC: BF8CC07F
	s_barrier                                                  // 000000003EC0: BF8A0000
	ds_read_b32 v80, v10 offset:20992                          // 000000003EC4: D86C5200 5000000A
	ds_read_b32 v81, v10 offset:21056                          // 000000003ECC: D86C5240 5100000A
	ds_read_b32 v82, v10 offset:21120                          // 000000003ED4: D86C5280 5200000A
	ds_read_b32 v83, v10 offset:21184                          // 000000003EDC: D86C52C0 5300000A
	ds_read_b32 v84, v10 offset:21248                          // 000000003EE4: D86C5300 5400000A
	ds_read_b32 v85, v10 offset:21312                          // 000000003EEC: D86C5340 5500000A
	ds_read_b32 v86, v10 offset:21376                          // 000000003EF4: D86C5380 5600000A
	ds_read_b32 v87, v10 offset:21440                          // 000000003EFC: D86C53C0 5700000A
	ds_read_b32 v88, v10 offset:21504                          // 000000003F04: D86C5400 5800000A
	ds_read_b32 v89, v10 offset:21568                          // 000000003F0C: D86C5440 5900000A
	ds_read_b32 v90, v10 offset:21632                          // 000000003F14: D86C5480 5A00000A
	ds_read_b32 v91, v10 offset:21696                          // 000000003F1C: D86C54C0 5B00000A
	ds_read_b32 v92, v10 offset:21760                          // 000000003F24: D86C5500 5C00000A
	ds_read_b32 v93, v10 offset:21824                          // 000000003F2C: D86C5540 5D00000A
	ds_read_b32 v94, v10 offset:21888                          // 000000003F34: D86C5580 5E00000A
	ds_read_b32 v95, v10 offset:21952                          // 000000003F3C: D86C55C0 5F00000A
	v_mul_f32_e32 v47, v63, v47                                // 000000003F44: 0A5E5F3F
	v_mov_b32_e32 v51, v128                                    // 000000003F48: 7E660380
	v_add_f32_e32 v51, v129, v51                               // 000000003F4C: 02666781
	v_add_f32_e32 v51, v130, v51                               // 000000003F50: 02666782
	v_add_f32_e32 v51, v131, v51                               // 000000003F54: 02666783
	v_add_f32_e32 v51, v132, v51                               // 000000003F58: 02666784
	v_add_f32_e32 v51, v133, v51                               // 000000003F5C: 02666785
	v_add_f32_e32 v51, v134, v51                               // 000000003F60: 02666786
	v_add_f32_e32 v51, v135, v51                               // 000000003F64: 02666787
	v_add_f32_e32 v47, v51, v47                                // 000000003F68: 025E5F33
	s_waitcnt lgkmcnt(0)                                       // 000000003F6C: BF8CC07F
	v_max3_f32 v62, |v80|, |v81|, v62                          // 000000003F70: D1D3033E 04FAA350
	v_max3_f32 v62, |v82|, |v83|, v62                          // 000000003F78: D1D3033E 04FAA752
	v_max3_f32 v62, |v84|, |v85|, v62                          // 000000003F80: D1D3033E 04FAAB54
	v_max3_f32 v62, |v86|, |v87|, v62                          // 000000003F88: D1D3033E 04FAAF56
	v_max3_f32 v62, |v88|, |v89|, v62                          // 000000003F90: D1D3033E 04FAB358
	v_max3_f32 v62, |v90|, |v91|, v62                          // 000000003F98: D1D3033E 04FAB75A
	v_max3_f32 v62, |v92|, |v93|, v62                          // 000000003FA0: D1D3033E 04FABB5C
	v_max3_f32 v62, |v94|, |v95|, v62                          // 000000003FA8: D1D3033E 04FABF5E
	s_nop 2                                                    // 000000003FB0: BF800002
	v_mov_b32_dpp v41, v62 row_ror:8 row_mask:0xf bank_mask:0xf// 000000003FB4: 7E5202FA FF01283E
	v_max_f32_e32 v62, v62, v41                                // 000000003FBC: 167C533E
	v_rcp_f32_e32 v62, v62                                     // 000000003FC0: 7E7C453E
	s_nop 1                                                    // 000000003FC4: BF800001
	v_mul_f32_e32 v62, 0x42fe0000, v62                         // 000000003FC8: 0A7C7CFF 42FE0000
	v_mul_f32_e32 v128, v62, v240                              // 000000003FD0: 0B01E13E
	v_mul_f32_e32 v129, v62, v241                              // 000000003FD4: 0B03E33E
	v_mul_f32_e32 v130, v62, v242                              // 000000003FD8: 0B05E53E
	v_mul_f32_e32 v131, v62, v243                              // 000000003FDC: 0B07E73E
	v_mul_f32_e32 v132, v62, v244                              // 000000003FE0: 0B09E93E
	v_mul_f32_e32 v133, v62, v245                              // 000000003FE4: 0B0BEB3E
	v_mul_f32_e32 v134, v62, v246                              // 000000003FE8: 0B0DED3E
	v_mul_f32_e32 v135, v62, v247                              // 000000003FEC: 0B0FEF3E
	v_cvt_i32_f32_e32 v128, v128                               // 000000003FF0: 7F001180
	v_cvt_i32_f32_e32 v129, v129                               // 000000003FF4: 7F021181
	v_cvt_i32_f32_e32 v130, v130                               // 000000003FF8: 7F041182
	v_cvt_i32_f32_e32 v131, v131                               // 000000003FFC: 7F061183
	v_cvt_i32_f32_e32 v132, v132                               // 000000004000: 7F081184
	v_cvt_i32_f32_e32 v133, v133                               // 000000004004: 7F0A1185
	v_cvt_i32_f32_e32 v134, v134                               // 000000004008: 7F0C1186
	v_cvt_i32_f32_e32 v135, v135                               // 00000000400C: 7F0E1187
	v_perm_b32 v128, v129, v128, s53                           // 000000004010: D1ED0080 00D70181
	v_perm_b32 v128, v130, v128, s54                           // 000000004018: D1ED0080 00DB0182
	v_perm_b32 v128, v131, v128, s55                           // 000000004020: D1ED0080 00DF0183
	v_perm_b32 v129, v133, v132, s53                           // 000000004028: D1ED0081 00D70985
	v_perm_b32 v129, v134, v129, s54                           // 000000004030: D1ED0081 00DB0386
	v_perm_b32 v129, v135, v129, s55                           // 000000004038: D1ED0081 00DF0387
	ds_write_b32 v13, v128 offset:25088                        // 000000004040: D81A6200 0000800D
	ds_write_b32 v13, v129 offset:26112                        // 000000004048: D81A6600 0000810D
	v_cvt_f32_i32_e32 v192, v192                               // 000000004050: 7F800BC0
	v_cvt_f32_i32_e32 v193, v193                               // 000000004054: 7F820BC1
	v_cvt_f32_i32_e32 v194, v194                               // 000000004058: 7F840BC2
	v_cvt_f32_i32_e32 v195, v195                               // 00000000405C: 7F860BC3
	v_mul_f32_e32 v192, v58, v192                              // 000000004060: 0B81813A
	v_mul_f32_e32 v193, v58, v193                              // 000000004064: 0B83833A
	v_mul_f32_e32 v194, v58, v194                              // 000000004068: 0B85853A
	v_mul_f32_e32 v195, v58, v195                              // 00000000406C: 0B87873A
	v_rcp_f32_e32 v58, v62                                     // 000000004070: 7E74453E
	s_waitcnt lgkmcnt(0)                                       // 000000004074: BF8CC07F
	s_barrier                                                  // 000000004078: BF8A0000
	ds_read_b64 v[128:129], v12 offset:25088                   // 00000000407C: D8EC6200 8000000C
	ds_read_b64 v[130:131], v12 offset:25216                   // 000000004084: D8EC6280 8200000C
	ds_read_b64 v[132:133], v12 offset:26112                   // 00000000408C: D8EC6600 8400000C
	ds_read_b64 v[134:135], v12 offset:26240                   // 000000004094: D8EC6680 8600000C
	v_add_f32_e32 v224, v224, v192                             // 00000000409C: 03C181E0
	v_add_f32_e32 v225, v225, v193                             // 0000000040A0: 03C383E1
	v_add_f32_e32 v226, v226, v194                             // 0000000040A4: 03C585E2
	v_add_f32_e32 v227, v227, v195                             // 0000000040A8: 03C787E3
	s_waitcnt lgkmcnt(3)                                       // 0000000040AC: BF8CC37F
	v_mov_b32_dpp v136, v128 row_shl:8 row_mask:0xf bank_mask:0xf bound_ctrl:1// 0000000040B0: 7F1002FA FF090880
	v_and_b32_e32 v128, v128, v9                               // 0000000040B8: 27001380
	v_mov_b32_dpp v137, v129 row_shl:8 row_mask:0xf bank_mask:0xf bound_ctrl:1// 0000000040BC: 7F1202FA FF090881
	v_and_b32_e32 v129, v129, v9                               // 0000000040C4: 27021381
	s_waitcnt lgkmcnt(2)                                       // 0000000040C8: BF8CC27F
	v_mov_b32_dpp v138, v130 row_shl:8 row_mask:0xf bank_mask:0xf bound_ctrl:1// 0000000040CC: 7F1402FA FF090882
	v_and_b32_e32 v130, v130, v9                               // 0000000040D4: 27041382
	v_mov_b32_dpp v139, v131 row_shl:8 row_mask:0xf bank_mask:0xf bound_ctrl:1// 0000000040D8: 7F1602FA FF090883
	v_and_b32_e32 v131, v131, v9                               // 0000000040E0: 27061383
	s_waitcnt lgkmcnt(1)                                       // 0000000040E4: BF8CC17F
	v_mov_b32_dpp v140, v132 row_shl:8 row_mask:0xf bank_mask:0xf bound_ctrl:1// 0000000040E8: 7F1802FA FF090884
	v_and_b32_e32 v132, v132, v9                               // 0000000040F0: 27081384
	v_mov_b32_dpp v141, v133 row_shl:8 row_mask:0xf bank_mask:0xf bound_ctrl:1// 0000000040F4: 7F1A02FA FF090885
	v_and_b32_e32 v133, v133, v9                               // 0000000040FC: 270A1385
	s_waitcnt lgkmcnt(0)                                       // 000000004100: BF8CC07F
	v_mov_b32_dpp v142, v134 row_shl:8 row_mask:0xf bank_mask:0xf bound_ctrl:1// 000000004104: 7F1C02FA FF090886
	v_and_b32_e32 v134, v134, v9                               // 00000000410C: 270C1386
	v_mov_b32_dpp v143, v135 row_shl:8 row_mask:0xf bank_mask:0xf bound_ctrl:1// 000000004110: 7F1E02FA FF090887
	v_and_b32_e32 v135, v135, v9                               // 000000004118: 270E1387
	s_waitcnt vmcnt(15)                                        // 00000000411C: BF8C0F7F
	v_mfma_i32_16x16x32_i8 v[192:195], a[64:65], v[128:129], 0 // 000000004120: D3D700C0 0A030140
	buffer_load_dwordx4 a[112:115], v37, s[20:23], 0 offen offset:1024// 000000004128: E05C1400 80857025
	v_mfma_i32_16x16x32_i8 v[192:195], a[66:67], v[130:131], v[192:195]// 000000004130: D3D700C0 0F030542
	v_mfma_i32_16x16x32_i8 v[192:195], a[68:69], v[132:133], v[192:195]// 000000004138: D3D700C0 0F030944
	v_mfma_i32_16x16x32_i8 v[192:195], a[70:71], v[134:135], v[192:195]// 000000004140: D3D700C0 0F030D46
	v_mfma_i32_16x16x32_i8 v[192:195], a[72:73], v[136:137], v[192:195]// 000000004148: D3D700C0 0F031148
	buffer_load_dwordx4 a[116:119], v38, s[20:23], 0 offen offset:1024// 000000004150: E05C1400 80857426
	v_mfma_i32_16x16x32_i8 v[192:195], a[74:75], v[138:139], v[192:195]// 000000004158: D3D700C0 0F03154A
	v_mfma_i32_16x16x32_i8 v[192:195], a[76:77], v[140:141], v[192:195]// 000000004160: D3D700C0 0F03194C
	v_mfma_i32_16x16x32_i8 v[192:195], a[78:79], v[142:143], v[192:195]// 000000004168: D3D700C0 0F031D4E
	v_mfma_i32_16x16x32_i8 v[196:199], a[80:81], v[128:129], 0 // 000000004170: D3D700C4 0A030150
	buffer_load_dwordx4 a[120:123], v39, s[20:23], 0 offen offset:1024// 000000004178: E05C1400 80857827
	v_mfma_i32_16x16x32_i8 v[196:199], a[82:83], v[130:131], v[196:199]// 000000004180: D3D700C4 0F130552
	v_mfma_i32_16x16x32_i8 v[196:199], a[84:85], v[132:133], v[196:199]// 000000004188: D3D700C4 0F130954
	v_mfma_i32_16x16x32_i8 v[196:199], a[86:87], v[134:135], v[196:199]// 000000004190: D3D700C4 0F130D56
	v_mfma_i32_16x16x32_i8 v[196:199], a[88:89], v[136:137], v[196:199]// 000000004198: D3D700C4 0F131158
	buffer_load_dwordx4 a[124:127], v40, s[20:23], 0 offen offset:1024// 0000000041A0: E05C1400 80857C28
	v_mfma_i32_16x16x32_i8 v[196:199], a[90:91], v[138:139], v[196:199]// 0000000041A8: D3D700C4 0F13155A
	v_mfma_i32_16x16x32_i8 v[196:199], a[92:93], v[140:141], v[196:199]// 0000000041B0: D3D700C4 0F13195C
	s_lshr_b32 s57, s70, 4                                     // 0000000041B8: 8F398446
	s_add_u32 s57, 48, s57                                     // 0000000041BC: 803939B0
	v_mfma_i32_16x16x32_i8 v[196:199], a[94:95], v[142:143], v[196:199]// 0000000041C0: D3D700C4 0F131D5E
	s_cmp_ge_u32 s57, s73                                      // 0000000041C8: BF094939
	s_cselect_b32 s56, 0, s56                                  // 0000000041CC: 85383880
	v_add_u32_e32 v1, s56, v1                                  // 0000000041D0: 68020238
	s_addk_i32 s70, 0x100                                      // 0000000041D4: B7460100
	s_cmp_lt_i32 s70, s71                                      // 0000000041D8: BF044746
	s_cbranch_scc0 label_0603                                  // 0000000041DC: BF84FE0B
	s_waitcnt vmcnt(8) lgkmcnt(0)                              // 0000000041E0: BF8C0078
	v_mul_u32_u24_dpp v41, v19, v68 row_newbcast:0 row_mask:0xf bank_mask:0xf// 0000000041E4: 105288FA FF015013
	v_mul_u32_u24_dpp v42, v19, v68 row_newbcast:4 row_mask:0xf bank_mask:0xf// 0000000041EC: 105488FA FF015413
	v_mul_u32_u24_dpp v43, v19, v68 row_newbcast:8 row_mask:0xf bank_mask:0xf// 0000000041F4: 105688FA FF015813
	v_mul_u32_u24_dpp v44, v19, v68 row_newbcast:12 row_mask:0xf bank_mask:0xf// 0000000041FC: 105888FA FF015C13
	v_add_u32_e32 v25, v41, v6                                 // 000000004204: 68320D29
	v_add_u32_e32 v26, v42, v6                                 // 000000004208: 68340D2A
	v_add_u32_e32 v27, v43, v6                                 // 00000000420C: 68360D2B
	v_add_u32_e32 v28, v44, v6                                 // 000000004210: 68380D2C
	v_mul_u32_u24_dpp v41, v19, v78 quad_perm:[0,0,0,0] row_mask:0xf bank_mask:0xf// 000000004214: 10529CFA FF000013
	v_add_u32_e32 v2, v41, v74                                 // 00000000421C: 68049529
	v_mul_u32_u24_dpp v41, v19, v78 quad_perm:[0,0,0,0] row_mask:0xf bank_mask:0xf// 000000004220: 10529CFA FF000013
	v_add_u32_e32 v70, v41, v75                                // 000000004228: 688C9729
	v_mfma_i32_16x16x32_i8 v[128:131], a[32:33], v[96:97], 0   // 00000000422C: D3D70080 0A02C120
	buffer_load_dwordx4 a[0:3], v25, s[16:19], 0 offen         // 000000004234: E05C1000 80840019
	v_mfma_i32_16x16x32_i8 v[128:131], a[34:35], v[98:99], v[128:131]// 00000000423C: D3D70080 0E02C522
	v_mfma_i32_16x16x32_i8 v[128:131], a[36:37], v[100:101], v[128:131]// 000000004244: D3D70080 0E02C924
	buffer_load_dword v20, v1, s[24:27], 0 offen               // 00000000424C: E0501000 80061401
	v_mfma_i32_16x16x32_i8 v[128:131], a[38:39], v[102:103], v[128:131]// 000000004254: D3D70080 0E02CD26
	v_mfma_i32_16x16x32_i8 v[132:135], a[40:41], v[96:97], 0   // 00000000425C: D3D70084 0A02C128
	buffer_load_dwordx4 a[4:7], v25, s[16:19], 0 offen offset:1024// 000000004264: E05C1400 80840419
	v_mfma_i32_16x16x32_i8 v[132:135], a[42:43], v[98:99], v[132:135]// 00000000426C: D3D70084 0E12C52A
	v_mfma_i32_16x16x32_i8 v[132:135], a[44:45], v[100:101], v[132:135]// 000000004274: D3D70084 0E12C92C
	v_mfma_i32_16x16x32_i8 v[132:135], a[46:47], v[102:103], v[132:135]// 00000000427C: D3D70084 0E12CD2E
	v_mfma_i32_16x16x32_i8 v[136:139], a[48:49], v[96:97], 0   // 000000004284: D3D70088 0A02C130
	buffer_load_dwordx4 a[8:11], v26, s[16:19], 0 offen        // 00000000428C: E05C1000 8084081A
	v_mfma_i32_16x16x32_i8 v[136:139], a[50:51], v[98:99], v[136:139]// 000000004294: D3D70088 0E22C532
	v_mfma_i32_16x16x32_i8 v[136:139], a[52:53], v[100:101], v[136:139]// 00000000429C: D3D70088 0E22C934
	v_mfma_i32_16x16x32_i8 v[136:139], a[54:55], v[102:103], v[136:139]// 0000000042A4: D3D70088 0E22CD36
	v_mfma_i32_16x16x32_i8 v[140:143], a[56:57], v[96:97], 0   // 0000000042AC: D3D7008C 0A02C138
	buffer_load_dwordx4 a[12:15], v26, s[16:19], 0 offen offset:1024// 0000000042B4: E05C1400 80840C1A
	v_mfma_i32_16x16x32_i8 v[140:143], a[58:59], v[98:99], v[140:143]// 0000000042BC: D3D7008C 0E32C53A
	v_mfma_i32_16x16x32_i8 v[140:143], a[60:61], v[100:101], v[140:143]// 0000000042C4: D3D7008C 0E32C93C
	v_mfma_i32_16x16x32_i8 v[140:143], a[62:63], v[102:103], v[140:143]// 0000000042CC: D3D7008C 0E32CD3E
	buffer_load_dword v52, v2, s[32:35], 0 offen               // 0000000042D4: E0501000 80083402
	v_mov_b32_dpp v41, v53 row_shr:4 row_mask:0xf bank_mask:0xf// 0000000042DC: 7E5202FA FF011435
	v_mov_b32_dpp v42, v53 row_shl:4 row_mask:0xf bank_mask:0xf// 0000000042E4: 7E5402FA FF010435
	v_cndmask_b32_e64 v248, v53, v41, s[44:45]                 // 0000000042EC: D10000F8 00B25335
	v_cndmask_b32_e64 v249, v42, v53, s[44:45]                 // 0000000042F4: D10000F9 00B26B2A
	v_mov_b32_dpp v41, v73 row_shr:4 row_mask:0xf bank_mask:0xf// 0000000042FC: 7E5202FA FF011449
	v_mov_b32_dpp v42, v73 row_shl:4 row_mask:0xf bank_mask:0xf// 000000004304: 7E5402FA FF010449
	v_cndmask_b32_e64 v252, v73, v41, s[44:45]                 // 00000000430C: D10000FC 00B25349
	v_cndmask_b32_e64 v253, v42, v73, s[44:45]                 // 000000004314: D10000FD 00B2932A
	v_or_b32_dpp v128, v136, v128 row_shr:8 row_mask:0xf bank_mask:0xf bound_ctrl:1// 00000000431C: 290100FA FF091888
	v_or_b32_dpp v129, v137, v129 row_shr:8 row_mask:0xf bank_mask:0xf bound_ctrl:1// 000000004324: 290302FA FF091889
	v_or_b32_dpp v130, v138, v130 row_shr:8 row_mask:0xf bank_mask:0xf bound_ctrl:1// 00000000432C: 290504FA FF09188A
	v_or_b32_dpp v131, v139, v131 row_shr:8 row_mask:0xf bank_mask:0xf bound_ctrl:1// 000000004334: 290706FA FF09188B
	v_or_b32_dpp v132, v140, v132 row_shr:8 row_mask:0xf bank_mask:0xf bound_ctrl:1// 00000000433C: 290908FA FF09188C
	v_or_b32_dpp v133, v141, v133 row_shr:8 row_mask:0xf bank_mask:0xf bound_ctrl:1// 000000004344: 290B0AFA FF09188D
	v_or_b32_dpp v134, v142, v134 row_shr:8 row_mask:0xf bank_mask:0xf bound_ctrl:1// 00000000434C: 290D0CFA FF09188E
	v_or_b32_dpp v135, v143, v135 row_shr:8 row_mask:0xf bank_mask:0xf bound_ctrl:1// 000000004354: 290F0EFA FF09188F
	buffer_load_dword v72, v70, s[36:39], 0 offen              // 00000000435C: E0501000 80094846
	v_cvt_f32_i32_e32 v128, v128                               // 000000004364: 7F000B80
	v_cvt_f32_i32_e32 v129, v129                               // 000000004368: 7F020B81
	v_cvt_f32_i32_e32 v130, v130                               // 00000000436C: 7F040B82
	v_cvt_f32_i32_e32 v131, v131                               // 000000004370: 7F060B83
	v_cvt_f32_i32_e32 v132, v132                               // 000000004374: 7F080B84
	v_cvt_f32_i32_e32 v133, v133                               // 000000004378: 7F0A0B85
	v_cvt_f32_i32_e32 v134, v134                               // 00000000437C: 7F0C0B86
	v_cvt_f32_i32_e32 v135, v135                               // 000000004380: 7F0E0B87
	v_mul_f32_e32 v128, v54, v128                              // 000000004384: 0B010136
	v_mul_f32_e32 v129, v54, v129                              // 000000004388: 0B030336
	v_mul_f32_e32 v130, v54, v130                              // 00000000438C: 0B050536
	v_mul_f32_e32 v131, v54, v131                              // 000000004390: 0B070736
	v_mul_f32_e32 v132, v54, v132                              // 000000004394: 0B090936
	v_mul_f32_e32 v133, v54, v133                              // 000000004398: 0B0B0B36
	v_mul_f32_e32 v134, v54, v134                              // 00000000439C: 0B0D0D36
	v_mul_f32_e32 v135, v54, v135                              // 0000000043A0: 0B0F0F36
	buffer_load_dwordx4 a[16:19], v27, s[16:19], 0 offen       // 0000000043A4: E05C1000 8084101B
	v_mul_f32_dpp v128, v248, v128 quad_perm:[0,0,0,0] row_mask:0xf bank_mask:0xf// 0000000043AC: 0B0100FA FF0000F8
	v_mul_f32_dpp v129, v248, v129 quad_perm:[1,1,1,1] row_mask:0xf bank_mask:0xf// 0000000043B4: 0B0302FA FF0055F8
	v_mul_f32_dpp v130, v248, v130 quad_perm:[2,2,2,2] row_mask:0xf bank_mask:0xf// 0000000043BC: 0B0504FA FF00AAF8
	v_mul_f32_dpp v131, v248, v131 quad_perm:[3,3,3,3] row_mask:0xf bank_mask:0xf// 0000000043C4: 0B0706FA FF00FFF8
	v_mul_f32_dpp v132, v249, v132 quad_perm:[0,0,0,0] row_mask:0xf bank_mask:0xf// 0000000043CC: 0B0908FA FF0000F9
	v_mul_f32_dpp v133, v249, v133 quad_perm:[1,1,1,1] row_mask:0xf bank_mask:0xf// 0000000043D4: 0B0B0AFA FF0055F9
	v_mul_f32_dpp v134, v249, v134 quad_perm:[2,2,2,2] row_mask:0xf bank_mask:0xf// 0000000043DC: 0B0D0CFA FF00AAF9
	v_mul_f32_dpp v135, v249, v135 quad_perm:[3,3,3,3] row_mask:0xf bank_mask:0xf// 0000000043E4: 0B0F0EFA FF00FFF9
	buffer_load_dwordx4 a[20:23], v27, s[16:19], 0 offen offset:1024// 0000000043EC: E05C1400 8084141B
	v_mov_b32_e32 v62, v128                                    // 0000000043F4: 7E7C0380
	v_max3_f32 v62, v128, v129, v62                            // 0000000043F8: D1D3003E 04FB0380
	v_max3_f32 v62, v130, v131, v62                            // 000000004400: D1D3003E 04FB0782
	v_max3_f32 v62, v132, v133, v62                            // 000000004408: D1D3003E 04FB0B84
	v_max3_f32 v62, v134, v135, v62                            // 000000004410: D1D3003E 04FB0F86
	ds_write_b32 v11, v62 offset:16896                         // 000000004418: D81A4200 00003E0B
	buffer_load_dwordx4 a[24:27], v28, s[16:19], 0 offen       // 000000004420: E05C1000 8084181C
	v_mul_u32_u24_dpp v41, v19, v68 row_newbcast:1 row_mask:0xf bank_mask:0xf// 000000004428: 105288FA FF015113
	v_mul_u32_u24_dpp v42, v19, v68 row_newbcast:5 row_mask:0xf bank_mask:0xf// 000000004430: 105488FA FF015513
	v_mul_u32_u24_dpp v43, v19, v68 row_newbcast:9 row_mask:0xf bank_mask:0xf// 000000004438: 105688FA FF015913
	v_mul_u32_u24_dpp v44, v19, v68 row_newbcast:13 row_mask:0xf bank_mask:0xf// 000000004440: 105888FA FF015D13
	v_add_u32_e32 v33, v41, v7                                 // 000000004448: 68420F29
	v_add_u32_e32 v34, v42, v7                                 // 00000000444C: 68440F2A
	v_add_u32_e32 v35, v43, v7                                 // 000000004450: 68460F2B
	v_add_u32_e32 v36, v44, v7                                 // 000000004454: 68480F2C
	s_waitcnt lgkmcnt(0)                                       // 000000004458: BF8CC07F
	s_barrier                                                  // 00000000445C: BF8A0000
	ds_read_b32 v80, v10 offset:16896                          // 000000004460: D86C4200 5000000A
	ds_read_b32 v81, v10 offset:16960                          // 000000004468: D86C4240 5100000A
	ds_read_b32 v82, v10 offset:17024                          // 000000004470: D86C4280 5200000A
	ds_read_b32 v83, v10 offset:17088                          // 000000004478: D86C42C0 5300000A
	ds_read_b32 v84, v10 offset:17152                          // 000000004480: D86C4300 5400000A
	ds_read_b32 v85, v10 offset:17216                          // 000000004488: D86C4340 5500000A
	ds_read_b32 v86, v10 offset:17280                          // 000000004490: D86C4380 5600000A
	ds_read_b32 v87, v10 offset:17344                          // 000000004498: D86C43C0 5700000A
	ds_read_b32 v88, v10 offset:17408                          // 0000000044A0: D86C4400 5800000A
	ds_read_b32 v89, v10 offset:17472                          // 0000000044A8: D86C4440 5900000A
	ds_read_b32 v90, v10 offset:17536                          // 0000000044B0: D86C4480 5A00000A
	ds_read_b32 v91, v10 offset:17600                          // 0000000044B8: D86C44C0 5B00000A
	ds_read_b32 v92, v10 offset:17664                          // 0000000044C0: D86C4500 5C00000A
	ds_read_b32 v93, v10 offset:17728                          // 0000000044C8: D86C4540 5D00000A
	ds_read_b32 v94, v10 offset:17792                          // 0000000044D0: D86C4580 5E00000A
	ds_read_b32 v95, v10 offset:17856                          // 0000000044D8: D86C45C0 5F00000A
	buffer_load_dwordx4 a[28:31], v28, s[16:19], 0 offen offset:1024// 0000000044E0: E05C1400 80841C1C
	v_mul_f32_e32 v224, v63, v224                              // 0000000044E8: 0BC1C13F
	v_mul_f32_e32 v225, v63, v225                              // 0000000044EC: 0BC3C33F
	v_mul_f32_e32 v226, v63, v226                              // 0000000044F0: 0BC5C53F
	v_mul_f32_e32 v227, v63, v227                              // 0000000044F4: 0BC7C73F
	v_or_b32_dpp v192, v196, v192 row_shr:8 row_mask:0xf bank_mask:0xf bound_ctrl:1// 0000000044F8: 298180FA FF0918C4
	v_or_b32_dpp v193, v197, v193 row_shr:8 row_mask:0xf bank_mask:0xf bound_ctrl:1// 000000004500: 298382FA FF0918C5
	v_or_b32_dpp v194, v198, v194 row_shr:8 row_mask:0xf bank_mask:0xf bound_ctrl:1// 000000004508: 298584FA FF0918C6
	v_or_b32_dpp v195, v199, v195 row_shr:8 row_mask:0xf bank_mask:0xf bound_ctrl:1// 000000004510: 298786FA FF0918C7
	s_waitcnt lgkmcnt(0)                                       // 000000004518: BF8CC07F
	v_max3_f32 v62, v80, v81, v62                              // 00000000451C: D1D3003E 04FAA350
	v_max3_f32 v62, v82, v83, v62                              // 000000004524: D1D3003E 04FAA752
	v_max3_f32 v62, v84, v85, v62                              // 00000000452C: D1D3003E 04FAAB54
	v_max3_f32 v62, v86, v87, v62                              // 000000004534: D1D3003E 04FAAF56
	v_max3_f32 v62, v88, v89, v62                              // 00000000453C: D1D3003E 04FAB358
	v_max3_f32 v62, v90, v91, v62                              // 000000004544: D1D3003E 04FAB75A
	v_max3_f32 v62, v92, v93, v62                              // 00000000454C: D1D3003E 04FABB5C
	v_max3_f32 v62, v94, v95, v62                              // 000000004554: D1D3003E 04FABF5E
	buffer_load_dwordx4 a[64:67], v33, s[20:23], 0 offen       // 00000000455C: E05C1000 80854021
	v_cmp_eq_u32_e64 s[40:41], v69, v14                        // 000000004564: D0CA0028 00021D45
	s_nop 1                                                    // 00000000456C: BF800001
	v_mov_b32_dpp v41, v62 row_ror:8 row_mask:0xf bank_mask:0xf// 000000004570: 7E5202FA FF01283E
	v_max_f32_e32 v62, v62, v41                                // 000000004578: 167C533E
	v_max_f32_e32 v18, v62, v14                                // 00000000457C: 16241D3E
	v_mul_f32_e32 v67, s64, v18                                // 000000004580: 0A862440
	v_fma_f32 v128, v128, s64, -v67                            // 000000004584: D1CB0080 850C8180
	v_fma_f32 v129, v129, s64, -v67                            // 00000000458C: D1CB0081 850C8181
	v_fma_f32 v130, v130, s64, -v67                            // 000000004594: D1CB0082 850C8182
	v_fma_f32 v131, v131, s64, -v67                            // 00000000459C: D1CB0083 850C8183
	v_fma_f32 v132, v132, s64, -v67                            // 0000000045A4: D1CB0084 850C8184
	v_fma_f32 v133, v133, s64, -v67                            // 0000000045AC: D1CB0085 850C8185
	v_fma_f32 v134, v134, s64, -v67                            // 0000000045B4: D1CB0086 850C8186
	v_fma_f32 v135, v135, s64, -v67                            // 0000000045BC: D1CB0087 850C8187
	buffer_load_dwordx4 a[68:71], v34, s[20:23], 0 offen       // 0000000045C4: E05C1000 80854422
	v_exp_f32_e32 v128, v128                                   // 0000000045CC: 7F004180
	v_exp_f32_e32 v129, v129                                   // 0000000045D0: 7F024181
	v_exp_f32_e32 v130, v130                                   // 0000000045D4: 7F044182
	v_exp_f32_e32 v131, v131                                   // 0000000045D8: 7F064183
	v_exp_f32_e32 v132, v132                                   // 0000000045DC: 7F084184
	v_exp_f32_e32 v133, v133                                   // 0000000045E0: 7F0A4185
	v_exp_f32_e32 v134, v134                                   // 0000000045E4: 7F0C4186
	v_exp_f32_e32 v135, v135                                   // 0000000045E8: 7F0E4187
	buffer_load_dwordx4 a[72:75], v35, s[20:23], 0 offen       // 0000000045EC: E05C1000 80854823
	v_mul_f32_dpp v240, v252, v128 quad_perm:[0,0,0,0] row_mask:0xf bank_mask:0xf// 0000000045F4: 0BE100FA FF0000FC
	v_mul_f32_dpp v241, v252, v129 quad_perm:[1,1,1,1] row_mask:0xf bank_mask:0xf// 0000000045FC: 0BE302FA FF0055FC
	v_mul_f32_dpp v242, v252, v130 quad_perm:[2,2,2,2] row_mask:0xf bank_mask:0xf// 000000004604: 0BE504FA FF00AAFC
	v_mul_f32_dpp v243, v252, v131 quad_perm:[3,3,3,3] row_mask:0xf bank_mask:0xf// 00000000460C: 0BE706FA FF00FFFC
	v_mul_f32_dpp v244, v253, v132 quad_perm:[0,0,0,0] row_mask:0xf bank_mask:0xf// 000000004614: 0BE908FA FF0000FD
	v_mul_f32_dpp v245, v253, v133 quad_perm:[1,1,1,1] row_mask:0xf bank_mask:0xf// 00000000461C: 0BEB0AFA FF0055FD
	v_mul_f32_dpp v246, v253, v134 quad_perm:[2,2,2,2] row_mask:0xf bank_mask:0xf// 000000004624: 0BED0CFA FF00AAFD
	v_mul_f32_dpp v247, v253, v135 quad_perm:[3,3,3,3] row_mask:0xf bank_mask:0xf// 00000000462C: 0BEF0EFA FF00FFFD
	v_mov_b32_e32 v62, 0x358637bd                              // 000000004634: 7E7C02FF 358637BD
	v_max3_f32 v62, |v240|, |v241|, v62                        // 00000000463C: D1D3033E 04FBE3F0
	v_max3_f32 v62, |v242|, |v243|, v62                        // 000000004644: D1D3033E 04FBE7F2
	v_max3_f32 v62, |v244|, |v245|, v62                        // 00000000464C: D1D3033E 04FBEBF4
	v_max3_f32 v62, |v246|, |v247|, v62                        // 000000004654: D1D3033E 04FBEFF6
	buffer_load_dwordx4 a[76:79], v36, s[20:23], 0 offen       // 00000000465C: E05C1000 80854C24
	ds_write_b32 v11, v62 offset:20992                         // 000000004664: D81A5200 00003E0B
	v_sub_f32_e32 v63, v14, v18                                // 00000000466C: 047E250E
	v_cndmask_b32_e64 v63, v63, 0, s[40:41]                    // 000000004670: D100003F 00A1013F
	v_mov_b32_e32 v14, v18                                     // 000000004678: 7E1C0312
	v_mul_f32_e32 v63, s64, v63                                // 00000000467C: 0A7E7E40
	v_exp_f32_e32 v63, v63                                     // 000000004680: 7E7E413F
	s_waitcnt lgkmcnt(0)                                       // 000000004684: BF8CC07F
	s_barrier                                                  // 000000004688: BF8A0000
	ds_read_b32 v80, v10 offset:20992                          // 00000000468C: D86C5200 5000000A
	ds_read_b32 v81, v10 offset:21056                          // 000000004694: D86C5240 5100000A
	ds_read_b32 v82, v10 offset:21120                          // 00000000469C: D86C5280 5200000A
	ds_read_b32 v83, v10 offset:21184                          // 0000000046A4: D86C52C0 5300000A
	ds_read_b32 v84, v10 offset:21248                          // 0000000046AC: D86C5300 5400000A
	ds_read_b32 v85, v10 offset:21312                          // 0000000046B4: D86C5340 5500000A
	ds_read_b32 v86, v10 offset:21376                          // 0000000046BC: D86C5380 5600000A
	ds_read_b32 v87, v10 offset:21440                          // 0000000046C4: D86C53C0 5700000A
	ds_read_b32 v88, v10 offset:21504                          // 0000000046CC: D86C5400 5800000A
	ds_read_b32 v89, v10 offset:21568                          // 0000000046D4: D86C5440 5900000A
	ds_read_b32 v90, v10 offset:21632                          // 0000000046DC: D86C5480 5A00000A
	ds_read_b32 v91, v10 offset:21696                          // 0000000046E4: D86C54C0 5B00000A
	ds_read_b32 v92, v10 offset:21760                          // 0000000046EC: D86C5500 5C00000A
	ds_read_b32 v93, v10 offset:21824                          // 0000000046F4: D86C5540 5D00000A
	ds_read_b32 v94, v10 offset:21888                          // 0000000046FC: D86C5580 5E00000A
	ds_read_b32 v95, v10 offset:21952                          // 000000004704: D86C55C0 5F00000A
	v_mul_f32_e32 v47, v63, v47                                // 00000000470C: 0A5E5F3F
	v_mov_b32_e32 v51, v128                                    // 000000004710: 7E660380
	v_add_f32_e32 v51, v129, v51                               // 000000004714: 02666781
	v_add_f32_e32 v51, v130, v51                               // 000000004718: 02666782
	v_add_f32_e32 v51, v131, v51                               // 00000000471C: 02666783
	v_add_f32_e32 v51, v132, v51                               // 000000004720: 02666784
	v_add_f32_e32 v51, v133, v51                               // 000000004724: 02666785
	;; [unrolled: 1-line block ×3, first 2 shown]
	v_add_f32_e32 v51, v135, v51                               // 00000000472C: 02666787
	v_add_f32_e32 v47, v51, v47                                // 000000004730: 025E5F33
	s_waitcnt lgkmcnt(0)                                       // 000000004734: BF8CC07F
	v_max3_f32 v62, |v80|, |v81|, v62                          // 000000004738: D1D3033E 04FAA350
	v_max3_f32 v62, |v82|, |v83|, v62                          // 000000004740: D1D3033E 04FAA752
	v_max3_f32 v62, |v84|, |v85|, v62                          // 000000004748: D1D3033E 04FAAB54
	v_max3_f32 v62, |v86|, |v87|, v62                          // 000000004750: D1D3033E 04FAAF56
	v_max3_f32 v62, |v88|, |v89|, v62                          // 000000004758: D1D3033E 04FAB358
	v_max3_f32 v62, |v90|, |v91|, v62                          // 000000004760: D1D3033E 04FAB75A
	v_max3_f32 v62, |v92|, |v93|, v62                          // 000000004768: D1D3033E 04FABB5C
	v_max3_f32 v62, |v94|, |v95|, v62                          // 000000004770: D1D3033E 04FABF5E
	s_nop 2                                                    // 000000004778: BF800002
	v_mov_b32_dpp v41, v62 row_ror:8 row_mask:0xf bank_mask:0xf// 00000000477C: 7E5202FA FF01283E
	v_max_f32_e32 v62, v62, v41                                // 000000004784: 167C533E
	v_rcp_f32_e32 v62, v62                                     // 000000004788: 7E7C453E
	s_nop 1                                                    // 00000000478C: BF800001
	v_mul_f32_e32 v62, 0x42fe0000, v62                         // 000000004790: 0A7C7CFF 42FE0000
	v_mul_f32_e32 v128, v62, v240                              // 000000004798: 0B01E13E
	v_mul_f32_e32 v129, v62, v241                              // 00000000479C: 0B03E33E
	v_mul_f32_e32 v130, v62, v242                              // 0000000047A0: 0B05E53E
	v_mul_f32_e32 v131, v62, v243                              // 0000000047A4: 0B07E73E
	v_mul_f32_e32 v132, v62, v244                              // 0000000047A8: 0B09E93E
	v_mul_f32_e32 v133, v62, v245                              // 0000000047AC: 0B0BEB3E
	v_mul_f32_e32 v134, v62, v246                              // 0000000047B0: 0B0DED3E
	v_mul_f32_e32 v135, v62, v247                              // 0000000047B4: 0B0FEF3E
	v_cvt_i32_f32_e32 v128, v128                               // 0000000047B8: 7F001180
	v_cvt_i32_f32_e32 v129, v129                               // 0000000047BC: 7F021181
	v_cvt_i32_f32_e32 v130, v130                               // 0000000047C0: 7F041182
	v_cvt_i32_f32_e32 v131, v131                               // 0000000047C4: 7F061183
	v_cvt_i32_f32_e32 v132, v132                               // 0000000047C8: 7F081184
	v_cvt_i32_f32_e32 v133, v133                               // 0000000047CC: 7F0A1185
	v_cvt_i32_f32_e32 v134, v134                               // 0000000047D0: 7F0C1186
	v_cvt_i32_f32_e32 v135, v135                               // 0000000047D4: 7F0E1187
	v_perm_b32 v128, v129, v128, s53                           // 0000000047D8: D1ED0080 00D70181
	v_perm_b32 v128, v130, v128, s54                           // 0000000047E0: D1ED0080 00DB0182
	v_perm_b32 v128, v131, v128, s55                           // 0000000047E8: D1ED0080 00DF0183
	v_perm_b32 v129, v133, v132, s53                           // 0000000047F0: D1ED0081 00D70985
	v_perm_b32 v129, v134, v129, s54                           // 0000000047F8: D1ED0081 00DB0386
	v_perm_b32 v129, v135, v129, s55                           // 000000004800: D1ED0081 00DF0387
	ds_write_b32 v13, v128 offset:25088                        // 000000004808: D81A6200 0000800D
	ds_write_b32 v13, v129 offset:26112                        // 000000004810: D81A6600 0000810D
	v_cvt_f32_i32_e32 v192, v192                               // 000000004818: 7F800BC0
	v_cvt_f32_i32_e32 v193, v193                               // 00000000481C: 7F820BC1
	v_cvt_f32_i32_e32 v194, v194                               // 000000004820: 7F840BC2
	v_cvt_f32_i32_e32 v195, v195                               // 000000004824: 7F860BC3
	v_mul_f32_e32 v192, v58, v192                              // 000000004828: 0B81813A
	v_mul_f32_e32 v193, v58, v193                              // 00000000482C: 0B83833A
	v_mul_f32_e32 v194, v58, v194                              // 000000004830: 0B85853A
	v_mul_f32_e32 v195, v58, v195                              // 000000004834: 0B87873A
	v_rcp_f32_e32 v58, v62                                     // 000000004838: 7E74453E
	s_waitcnt lgkmcnt(0)                                       // 00000000483C: BF8CC07F
	s_barrier                                                  // 000000004840: BF8A0000
	ds_read_b64 v[128:129], v12 offset:25088                   // 000000004844: D8EC6200 8000000C
	ds_read_b64 v[130:131], v12 offset:25216                   // 00000000484C: D8EC6280 8200000C
	ds_read_b64 v[132:133], v12 offset:26112                   // 000000004854: D8EC6600 8400000C
	ds_read_b64 v[134:135], v12 offset:26240                   // 00000000485C: D8EC6680 8600000C
	v_add_f32_e32 v224, v224, v192                             // 000000004864: 03C181E0
	v_add_f32_e32 v225, v225, v193                             // 000000004868: 03C383E1
	v_add_f32_e32 v226, v226, v194                             // 00000000486C: 03C585E2
	v_add_f32_e32 v227, v227, v195                             // 000000004870: 03C787E3
	s_waitcnt lgkmcnt(3)                                       // 000000004874: BF8CC37F
	v_mov_b32_dpp v136, v128 row_shl:8 row_mask:0xf bank_mask:0xf bound_ctrl:1// 000000004878: 7F1002FA FF090880
	v_and_b32_e32 v128, v128, v9                               // 000000004880: 27001380
	v_mov_b32_dpp v137, v129 row_shl:8 row_mask:0xf bank_mask:0xf bound_ctrl:1// 000000004884: 7F1202FA FF090881
	v_and_b32_e32 v129, v129, v9                               // 00000000488C: 27021381
	s_waitcnt lgkmcnt(2)                                       // 000000004890: BF8CC27F
	v_mov_b32_dpp v138, v130 row_shl:8 row_mask:0xf bank_mask:0xf bound_ctrl:1// 000000004894: 7F1402FA FF090882
	v_and_b32_e32 v130, v130, v9                               // 00000000489C: 27041382
	v_mov_b32_dpp v139, v131 row_shl:8 row_mask:0xf bank_mask:0xf bound_ctrl:1// 0000000048A0: 7F1602FA FF090883
	v_and_b32_e32 v131, v131, v9                               // 0000000048A8: 27061383
	s_waitcnt lgkmcnt(1)                                       // 0000000048AC: BF8CC17F
	v_mov_b32_dpp v140, v132 row_shl:8 row_mask:0xf bank_mask:0xf bound_ctrl:1// 0000000048B0: 7F1802FA FF090884
	v_and_b32_e32 v132, v132, v9                               // 0000000048B8: 27081384
	v_mov_b32_dpp v141, v133 row_shl:8 row_mask:0xf bank_mask:0xf bound_ctrl:1// 0000000048BC: 7F1A02FA FF090885
	v_and_b32_e32 v133, v133, v9                               // 0000000048C4: 270A1385
	s_waitcnt lgkmcnt(0)                                       // 0000000048C8: BF8CC07F
	v_mov_b32_dpp v142, v134 row_shl:8 row_mask:0xf bank_mask:0xf bound_ctrl:1// 0000000048CC: 7F1C02FA FF090886
	v_and_b32_e32 v134, v134, v9                               // 0000000048D4: 270C1386
	v_mov_b32_dpp v143, v135 row_shl:8 row_mask:0xf bank_mask:0xf bound_ctrl:1// 0000000048D8: 7F1E02FA FF090887
	v_and_b32_e32 v135, v135, v9                               // 0000000048E0: 270E1387
	s_waitcnt vmcnt(15)                                        // 0000000048E4: BF8C0F7F
	v_mfma_i32_16x16x32_i8 v[192:195], a[96:97], v[128:129], 0 // 0000000048E8: D3D700C0 0A030160
	buffer_load_dwordx4 a[80:83], v33, s[20:23], 0 offen offset:1024// 0000000048F0: E05C1400 80855021
	v_mfma_i32_16x16x32_i8 v[192:195], a[98:99], v[130:131], v[192:195]// 0000000048F8: D3D700C0 0F030562
	v_mfma_i32_16x16x32_i8 v[192:195], a[100:101], v[132:133], v[192:195]// 000000004900: D3D700C0 0F030964
	v_mfma_i32_16x16x32_i8 v[192:195], a[102:103], v[134:135], v[192:195]// 000000004908: D3D700C0 0F030D66
	v_mfma_i32_16x16x32_i8 v[192:195], a[104:105], v[136:137], v[192:195]// 000000004910: D3D700C0 0F031168
	buffer_load_dwordx4 a[84:87], v34, s[20:23], 0 offen offset:1024// 000000004918: E05C1400 80855422
	v_mfma_i32_16x16x32_i8 v[192:195], a[106:107], v[138:139], v[192:195]// 000000004920: D3D700C0 0F03156A
	v_mfma_i32_16x16x32_i8 v[192:195], a[108:109], v[140:141], v[192:195]// 000000004928: D3D700C0 0F03196C
	v_mfma_i32_16x16x32_i8 v[192:195], a[110:111], v[142:143], v[192:195]// 000000004930: D3D700C0 0F031D6E
	v_mfma_i32_16x16x32_i8 v[196:199], a[112:113], v[128:129], 0// 000000004938: D3D700C4 0A030170
	buffer_load_dwordx4 a[88:91], v35, s[20:23], 0 offen offset:1024// 000000004940: E05C1400 80855823
	v_mfma_i32_16x16x32_i8 v[196:199], a[114:115], v[130:131], v[196:199]// 000000004948: D3D700C4 0F130572
	v_mfma_i32_16x16x32_i8 v[196:199], a[116:117], v[132:133], v[196:199]// 000000004950: D3D700C4 0F130974
	v_mfma_i32_16x16x32_i8 v[196:199], a[118:119], v[134:135], v[196:199]// 000000004958: D3D700C4 0F130D76
	v_mfma_i32_16x16x32_i8 v[196:199], a[120:121], v[136:137], v[196:199]// 000000004960: D3D700C4 0F131178
	buffer_load_dwordx4 a[92:95], v36, s[20:23], 0 offen offset:1024// 000000004968: E05C1400 80855C24
	v_mfma_i32_16x16x32_i8 v[196:199], a[122:123], v[138:139], v[196:199]// 000000004970: D3D700C4 0F13157A
	v_mfma_i32_16x16x32_i8 v[196:199], a[124:125], v[140:141], v[196:199]// 000000004978: D3D700C4 0F13197C
	s_lshr_b32 s57, s70, 4                                     // 000000004980: 8F398446
	s_add_u32 s57, 48, s57                                     // 000000004984: 803939B0
	v_mfma_i32_16x16x32_i8 v[196:199], a[126:127], v[142:143], v[196:199]// 000000004988: D3D700C4 0F131D7E
	s_cmp_ge_u32 s57, s73                                      // 000000004990: BF094939
	s_cselect_b32 s56, 0, s56                                  // 000000004994: 85383880
	v_add_u32_e32 v1, s56, v1                                  // 000000004998: 68020238
	s_addk_i32 s70, 0x100                                      // 00000000499C: B7460100
	s_cmp_lt_i32 s70, s71                                      // 0000000049A0: BF044746
	s_cbranch_scc0 label_0603                                  // 0000000049A4: BF84FC19
	s_branch label_0606                                        // 0000000049A8: BF82FC1B

00000000000049ac <label_09EB>:
	s_lshr_b32 s60, s71, 4                                     // 0000000049AC: 8F3C8447
	s_cmp_eq_i32 s60, s73                                      // 0000000049B0: BF00493C
	s_cbranch_scc1 label_0DDC                                  // 0000000049B4: BF8503EE
	s_lshr_b32 s60, s71, 8                                     // 0000000049B8: 8F3C8847
	s_and_b32 s60, s60, 1                                      // 0000000049BC: 863C813C
	s_cmp_eq_i32 s60, 1                                        // 0000000049C0: BF00813C
	s_cbranch_scc1 label_0BE7                                  // 0000000049C4: BF8501F5
	s_waitcnt vmcnt(8) lgkmcnt(0)                              // 0000000049C8: BF8C0078
	s_barrier                                                  // 0000000049CC: BF8A0000
	v_mfma_i32_16x16x32_i8 v[128:131], a[0:1], v[96:97], 0     // 0000000049D0: D3D70080 0A02C100
	v_mfma_i32_16x16x32_i8 v[128:131], a[2:3], v[98:99], v[128:131]// 0000000049D8: D3D70080 0E02C502
	v_mfma_i32_16x16x32_i8 v[128:131], a[4:5], v[100:101], v[128:131]// 0000000049E0: D3D70080 0E02C904
	v_mfma_i32_16x16x32_i8 v[128:131], a[6:7], v[102:103], v[128:131]// 0000000049E8: D3D70080 0E02CD06
	v_mfma_i32_16x16x32_i8 v[132:135], a[8:9], v[96:97], 0     // 0000000049F0: D3D70084 0A02C108
	v_mfma_i32_16x16x32_i8 v[132:135], a[10:11], v[98:99], v[132:135]// 0000000049F8: D3D70084 0E12C50A
	v_mfma_i32_16x16x32_i8 v[132:135], a[12:13], v[100:101], v[132:135]// 000000004A00: D3D70084 0E12C90C
	v_mfma_i32_16x16x32_i8 v[132:135], a[14:15], v[102:103], v[132:135]// 000000004A08: D3D70084 0E12CD0E
	v_mfma_i32_16x16x32_i8 v[136:139], a[16:17], v[96:97], 0   // 000000004A10: D3D70088 0A02C110
	v_mfma_i32_16x16x32_i8 v[136:139], a[18:19], v[98:99], v[136:139]// 000000004A18: D3D70088 0E22C512
	v_mfma_i32_16x16x32_i8 v[136:139], a[20:21], v[100:101], v[136:139]// 000000004A20: D3D70088 0E22C914
	v_mfma_i32_16x16x32_i8 v[136:139], a[22:23], v[102:103], v[136:139]// 000000004A28: D3D70088 0E22CD16
	v_mfma_i32_16x16x32_i8 v[140:143], a[24:25], v[96:97], 0   // 000000004A30: D3D7008C 0A02C118
	v_mfma_i32_16x16x32_i8 v[140:143], a[26:27], v[98:99], v[140:143]// 000000004A38: D3D7008C 0E32C51A
	v_mfma_i32_16x16x32_i8 v[140:143], a[28:29], v[100:101], v[140:143]// 000000004A40: D3D7008C 0E32C91C
	v_mfma_i32_16x16x32_i8 v[140:143], a[30:31], v[102:103], v[140:143]// 000000004A48: D3D7008C 0E32CD1E
	v_mov_b32_dpp v41, v52 row_shr:4 row_mask:0xf bank_mask:0xf// 000000004A50: 7E5202FA FF011434
	v_mov_b32_dpp v42, v52 row_shl:4 row_mask:0xf bank_mask:0xf// 000000004A58: 7E5402FA FF010434
	v_cndmask_b32_e64 v248, v52, v41, s[44:45]                 // 000000004A60: D10000F8 00B25334
	v_cndmask_b32_e64 v249, v42, v52, s[44:45]                 // 000000004A68: D10000F9 00B2692A
	v_mov_b32_dpp v41, v72 row_shr:4 row_mask:0xf bank_mask:0xf// 000000004A70: 7E5202FA FF011448
	v_mov_b32_dpp v42, v72 row_shl:4 row_mask:0xf bank_mask:0xf// 000000004A78: 7E5402FA FF010448
	v_cndmask_b32_e64 v252, v72, v41, s[44:45]                 // 000000004A80: D10000FC 00B25348
	v_cndmask_b32_e64 v253, v42, v72, s[44:45]                 // 000000004A88: D10000FD 00B2912A
	v_or_b32_dpp v128, v136, v128 row_shr:8 row_mask:0xf bank_mask:0xf bound_ctrl:1// 000000004A90: 290100FA FF091888
	v_or_b32_dpp v129, v137, v129 row_shr:8 row_mask:0xf bank_mask:0xf bound_ctrl:1// 000000004A98: 290302FA FF091889
	v_or_b32_dpp v130, v138, v130 row_shr:8 row_mask:0xf bank_mask:0xf bound_ctrl:1// 000000004AA0: 290504FA FF09188A
	v_or_b32_dpp v131, v139, v131 row_shr:8 row_mask:0xf bank_mask:0xf bound_ctrl:1// 000000004AA8: 290706FA FF09188B
	v_or_b32_dpp v132, v140, v132 row_shr:8 row_mask:0xf bank_mask:0xf bound_ctrl:1// 000000004AB0: 290908FA FF09188C
	v_or_b32_dpp v133, v141, v133 row_shr:8 row_mask:0xf bank_mask:0xf bound_ctrl:1// 000000004AB8: 290B0AFA FF09188D
	v_or_b32_dpp v134, v142, v134 row_shr:8 row_mask:0xf bank_mask:0xf bound_ctrl:1// 000000004AC0: 290D0CFA FF09188E
	v_or_b32_dpp v135, v143, v135 row_shr:8 row_mask:0xf bank_mask:0xf bound_ctrl:1// 000000004AC8: 290F0EFA FF09188F
	v_cvt_f32_i32_e32 v128, v128                               // 000000004AD0: 7F000B80
	v_cvt_f32_i32_e32 v129, v129                               // 000000004AD4: 7F020B81
	v_cvt_f32_i32_e32 v130, v130                               // 000000004AD8: 7F040B82
	v_cvt_f32_i32_e32 v131, v131                               // 000000004ADC: 7F060B83
	v_cvt_f32_i32_e32 v132, v132                               // 000000004AE0: 7F080B84
	v_cvt_f32_i32_e32 v133, v133                               // 000000004AE4: 7F0A0B85
	v_cvt_f32_i32_e32 v134, v134                               // 000000004AE8: 7F0C0B86
	v_cvt_f32_i32_e32 v135, v135                               // 000000004AEC: 7F0E0B87
	v_mul_f32_e32 v128, v54, v128                              // 000000004AF0: 0B010136
	v_mul_f32_e32 v129, v54, v129                              // 000000004AF4: 0B030336
	v_mul_f32_e32 v130, v54, v130                              // 000000004AF8: 0B050536
	v_mul_f32_e32 v131, v54, v131                              // 000000004AFC: 0B070736
	v_mul_f32_e32 v132, v54, v132                              // 000000004B00: 0B090936
	v_mul_f32_e32 v133, v54, v133                              // 000000004B04: 0B0B0B36
	v_mul_f32_e32 v134, v54, v134                              // 000000004B08: 0B0D0D36
	v_mul_f32_e32 v135, v54, v135                              // 000000004B0C: 0B0F0F36
	v_mul_f32_dpp v128, v248, v128 quad_perm:[0,0,0,0] row_mask:0xf bank_mask:0xf// 000000004B10: 0B0100FA FF0000F8
	v_mul_f32_dpp v129, v248, v129 quad_perm:[1,1,1,1] row_mask:0xf bank_mask:0xf// 000000004B18: 0B0302FA FF0055F8
	v_mul_f32_dpp v130, v248, v130 quad_perm:[2,2,2,2] row_mask:0xf bank_mask:0xf// 000000004B20: 0B0504FA FF00AAF8
	v_mul_f32_dpp v131, v248, v131 quad_perm:[3,3,3,3] row_mask:0xf bank_mask:0xf// 000000004B28: 0B0706FA FF00FFF8
	v_mul_f32_dpp v132, v249, v132 quad_perm:[0,0,0,0] row_mask:0xf bank_mask:0xf// 000000004B30: 0B0908FA FF0000F9
	v_mul_f32_dpp v133, v249, v133 quad_perm:[1,1,1,1] row_mask:0xf bank_mask:0xf// 000000004B38: 0B0B0AFA FF0055F9
	v_mul_f32_dpp v134, v249, v134 quad_perm:[2,2,2,2] row_mask:0xf bank_mask:0xf// 000000004B40: 0B0D0CFA FF00AAF9
	v_mul_f32_dpp v135, v249, v135 quad_perm:[3,3,3,3] row_mask:0xf bank_mask:0xf// 000000004B48: 0B0F0EFA FF00FFF9
	s_and_b32 s60, s72, 0xff                                   // 000000004B50: 863CFF48 000000FF
	v_mov_b32_e32 v79, s60                                     // 000000004B58: 7E9E023C
	v_lshrrev_b32_e32 v240, 4, v0                              // 000000004B5C: 21E00084
	v_mul_i32_i24_e32 v240, 4, v240                            // 000000004B60: 0DE1E084
	v_and_b32_e32 v41, 15, v0                                  // 000000004B64: 2652008F
	v_lshrrev_b32_e32 v41, 3, v41                              // 000000004B68: 20525283
	v_mul_i32_i24_e32 v41, 0x80, v41                           // 000000004B6C: 0C5252FF 00000080
	v_add_u32_e32 v240, v41, v240                              // 000000004B74: 69E1E129
	s_mul_i32 s60, s7, 16                                      // 000000004B78: 923C9007
	v_add_u32_e32 v240, s60, v240                              // 000000004B7C: 69E1E03C
	v_add_u32_e32 v241, 1, v240                                // 000000004B80: 69E3E081
	v_add_u32_e32 v242, 2, v240                                // 000000004B84: 69E5E082
	v_add_u32_e32 v243, 3, v240                                // 000000004B88: 69E7E083
	v_cmp_lt_u32_e64 s[40:41], v240, v79                       // 000000004B8C: D0C90028 00029FF0
	v_add_u32_e32 v240, 64, v240                               // 000000004B94: 69E1E0C0
	s_nop 0                                                    // 000000004B98: BF800000
	v_cndmask_b32_e64 v128, v69, v128, s[40:41]                // 000000004B9C: D1000080 00A30145
	v_cmp_lt_u32_e64 s[40:41], v241, v79                       // 000000004BA4: D0C90028 00029FF1
	v_add_u32_e32 v241, 64, v241                               // 000000004BAC: 69E3E2C0
	s_nop 0                                                    // 000000004BB0: BF800000
	v_cndmask_b32_e64 v129, v69, v129, s[40:41]                // 000000004BB4: D1000081 00A30345
	v_cmp_lt_u32_e64 s[40:41], v242, v79                       // 000000004BBC: D0C90028 00029FF2
	v_add_u32_e32 v242, 64, v242                               // 000000004BC4: 69E5E4C0
	s_nop 0                                                    // 000000004BC8: BF800000
	v_cndmask_b32_e64 v130, v69, v130, s[40:41]                // 000000004BCC: D1000082 00A30545
	v_cmp_lt_u32_e64 s[40:41], v243, v79                       // 000000004BD4: D0C90028 00029FF3
	v_add_u32_e32 v243, 64, v243                               // 000000004BDC: 69E7E6C0
	s_nop 0                                                    // 000000004BE0: BF800000
	v_cndmask_b32_e64 v131, v69, v131, s[40:41]                // 000000004BE4: D1000083 00A30745
	v_cmp_lt_u32_e64 s[40:41], v240, v79                       // 000000004BEC: D0C90028 00029FF0
	v_add_u32_e32 v240, 64, v240                               // 000000004BF4: 69E1E0C0
	s_nop 0                                                    // 000000004BF8: BF800000
	v_cndmask_b32_e64 v132, v69, v132, s[40:41]                // 000000004BFC: D1000084 00A30945
	v_cmp_lt_u32_e64 s[40:41], v241, v79                       // 000000004C04: D0C90028 00029FF1
	v_add_u32_e32 v241, 64, v241                               // 000000004C0C: 69E3E2C0
	s_nop 0                                                    // 000000004C10: BF800000
	v_cndmask_b32_e64 v133, v69, v133, s[40:41]                // 000000004C14: D1000085 00A30B45
	v_cmp_lt_u32_e64 s[40:41], v242, v79                       // 000000004C1C: D0C90028 00029FF2
	v_add_u32_e32 v242, 64, v242                               // 000000004C24: 69E5E4C0
	s_nop 0                                                    // 000000004C28: BF800000
	v_cndmask_b32_e64 v134, v69, v134, s[40:41]                // 000000004C2C: D1000086 00A30D45
	v_cmp_lt_u32_e64 s[40:41], v243, v79                       // 000000004C34: D0C90028 00029FF3
	v_add_u32_e32 v243, 64, v243                               // 000000004C3C: 69E7E6C0
	s_nop 0                                                    // 000000004C40: BF800000
	v_cndmask_b32_e64 v135, v69, v135, s[40:41]                // 000000004C44: D1000087 00A30F45
	v_mov_b32_e32 v62, v128                                    // 000000004C4C: 7E7C0380
	v_max3_f32 v62, v128, v129, v62                            // 000000004C50: D1D3003E 04FB0380
	v_max3_f32 v62, v130, v131, v62                            // 000000004C58: D1D3003E 04FB0782
	v_max3_f32 v62, v132, v133, v62                            // 000000004C60: D1D3003E 04FB0B84
	v_max3_f32 v62, v134, v135, v62                            // 000000004C68: D1D3003E 04FB0F86
	ds_write_b32 v11, v62 offset:16896                         // 000000004C70: D81A4200 00003E0B
	v_mul_u32_u24_dpp v41, v20, v68 row_newbcast:1 row_mask:0xf bank_mask:0xf// 000000004C78: 105288FA FF015114
	v_mul_u32_u24_dpp v42, v20, v68 row_newbcast:5 row_mask:0xf bank_mask:0xf// 000000004C80: 105488FA FF015514
	v_mul_u32_u24_dpp v43, v20, v68 row_newbcast:9 row_mask:0xf bank_mask:0xf// 000000004C88: 105688FA FF015914
	v_mul_u32_u24_dpp v44, v20, v68 row_newbcast:13 row_mask:0xf bank_mask:0xf// 000000004C90: 105888FA FF015D14
	v_add_u32_e32 v37, v41, v7                                 // 000000004C98: 684A0F29
	v_add_u32_e32 v38, v42, v7                                 // 000000004C9C: 684C0F2A
	v_add_u32_e32 v39, v43, v7                                 // 000000004CA0: 684E0F2B
	v_add_u32_e32 v40, v44, v7                                 // 000000004CA4: 68500F2C
	s_waitcnt lgkmcnt(0)                                       // 000000004CA8: BF8CC07F
	s_barrier                                                  // 000000004CAC: BF8A0000
	ds_read_b32 v80, v10 offset:16896                          // 000000004CB0: D86C4200 5000000A
	ds_read_b32 v81, v10 offset:16960                          // 000000004CB8: D86C4240 5100000A
	ds_read_b32 v82, v10 offset:17024                          // 000000004CC0: D86C4280 5200000A
	ds_read_b32 v83, v10 offset:17088                          // 000000004CC8: D86C42C0 5300000A
	ds_read_b32 v84, v10 offset:17152                          // 000000004CD0: D86C4300 5400000A
	ds_read_b32 v85, v10 offset:17216                          // 000000004CD8: D86C4340 5500000A
	ds_read_b32 v86, v10 offset:17280                          // 000000004CE0: D86C4380 5600000A
	ds_read_b32 v87, v10 offset:17344                          // 000000004CE8: D86C43C0 5700000A
	ds_read_b32 v88, v10 offset:17408                          // 000000004CF0: D86C4400 5800000A
	ds_read_b32 v89, v10 offset:17472                          // 000000004CF8: D86C4440 5900000A
	ds_read_b32 v90, v10 offset:17536                          // 000000004D00: D86C4480 5A00000A
	ds_read_b32 v91, v10 offset:17600                          // 000000004D08: D86C44C0 5B00000A
	ds_read_b32 v92, v10 offset:17664                          // 000000004D10: D86C4500 5C00000A
	ds_read_b32 v93, v10 offset:17728                          // 000000004D18: D86C4540 5D00000A
	ds_read_b32 v94, v10 offset:17792                          // 000000004D20: D86C4580 5E00000A
	ds_read_b32 v95, v10 offset:17856                          // 000000004D28: D86C45C0 5F00000A
	v_mul_f32_e32 v224, v63, v224                              // 000000004D30: 0BC1C13F
	v_mul_f32_e32 v225, v63, v225                              // 000000004D34: 0BC3C33F
	v_mul_f32_e32 v226, v63, v226                              // 000000004D38: 0BC5C53F
	v_mul_f32_e32 v227, v63, v227                              // 000000004D3C: 0BC7C73F
	v_or_b32_dpp v192, v196, v192 row_shr:8 row_mask:0xf bank_mask:0xf bound_ctrl:1// 000000004D40: 298180FA FF0918C4
	v_or_b32_dpp v193, v197, v193 row_shr:8 row_mask:0xf bank_mask:0xf bound_ctrl:1// 000000004D48: 298382FA FF0918C5
	v_or_b32_dpp v194, v198, v194 row_shr:8 row_mask:0xf bank_mask:0xf bound_ctrl:1// 000000004D50: 298584FA FF0918C6
	v_or_b32_dpp v195, v199, v195 row_shr:8 row_mask:0xf bank_mask:0xf bound_ctrl:1// 000000004D58: 298786FA FF0918C7
	s_waitcnt lgkmcnt(0)                                       // 000000004D60: BF8CC07F
	v_max3_f32 v62, v80, v81, v62                              // 000000004D64: D1D3003E 04FAA350
	v_max3_f32 v62, v82, v83, v62                              // 000000004D6C: D1D3003E 04FAA752
	v_max3_f32 v62, v84, v85, v62                              // 000000004D74: D1D3003E 04FAAB54
	v_max3_f32 v62, v86, v87, v62                              // 000000004D7C: D1D3003E 04FAAF56
	v_max3_f32 v62, v88, v89, v62                              // 000000004D84: D1D3003E 04FAB358
	v_max3_f32 v62, v90, v91, v62                              // 000000004D8C: D1D3003E 04FAB75A
	v_max3_f32 v62, v92, v93, v62                              // 000000004D94: D1D3003E 04FABB5C
	v_max3_f32 v62, v94, v95, v62                              // 000000004D9C: D1D3003E 04FABF5E
	v_cmp_eq_u32_e64 s[40:41], v69, v14                        // 000000004DA4: D0CA0028 00021D45
	s_nop 1                                                    // 000000004DAC: BF800001
	v_mov_b32_dpp v41, v62 row_ror:8 row_mask:0xf bank_mask:0xf// 000000004DB0: 7E5202FA FF01283E
	v_max_f32_e32 v62, v62, v41                                // 000000004DB8: 167C533E
	v_max_f32_e32 v18, v62, v14                                // 000000004DBC: 16241D3E
	v_mul_f32_e32 v67, s64, v18                                // 000000004DC0: 0A862440
	v_fma_f32 v128, v128, s64, -v67                            // 000000004DC4: D1CB0080 850C8180
	v_fma_f32 v129, v129, s64, -v67                            // 000000004DCC: D1CB0081 850C8181
	v_fma_f32 v130, v130, s64, -v67                            // 000000004DD4: D1CB0082 850C8182
	v_fma_f32 v131, v131, s64, -v67                            // 000000004DDC: D1CB0083 850C8183
	v_fma_f32 v132, v132, s64, -v67                            // 000000004DE4: D1CB0084 850C8184
	v_fma_f32 v133, v133, s64, -v67                            // 000000004DEC: D1CB0085 850C8185
	v_fma_f32 v134, v134, s64, -v67                            // 000000004DF4: D1CB0086 850C8186
	v_fma_f32 v135, v135, s64, -v67                            // 000000004DFC: D1CB0087 850C8187
	v_exp_f32_e32 v128, v128                                   // 000000004E04: 7F004180
	v_exp_f32_e32 v129, v129                                   // 000000004E08: 7F024181
	v_exp_f32_e32 v130, v130                                   // 000000004E0C: 7F044182
	v_exp_f32_e32 v131, v131                                   // 000000004E10: 7F064183
	v_exp_f32_e32 v132, v132                                   // 000000004E14: 7F084184
	v_exp_f32_e32 v133, v133                                   // 000000004E18: 7F0A4185
	v_exp_f32_e32 v134, v134                                   // 000000004E1C: 7F0C4186
	v_exp_f32_e32 v135, v135                                   // 000000004E20: 7F0E4187
	v_mul_f32_dpp v240, v252, v128 quad_perm:[0,0,0,0] row_mask:0xf bank_mask:0xf// 000000004E24: 0BE100FA FF0000FC
	v_mul_f32_dpp v241, v252, v129 quad_perm:[1,1,1,1] row_mask:0xf bank_mask:0xf// 000000004E2C: 0BE302FA FF0055FC
	v_mul_f32_dpp v242, v252, v130 quad_perm:[2,2,2,2] row_mask:0xf bank_mask:0xf// 000000004E34: 0BE504FA FF00AAFC
	v_mul_f32_dpp v243, v252, v131 quad_perm:[3,3,3,3] row_mask:0xf bank_mask:0xf// 000000004E3C: 0BE706FA FF00FFFC
	v_mul_f32_dpp v244, v253, v132 quad_perm:[0,0,0,0] row_mask:0xf bank_mask:0xf// 000000004E44: 0BE908FA FF0000FD
	v_mul_f32_dpp v245, v253, v133 quad_perm:[1,1,1,1] row_mask:0xf bank_mask:0xf// 000000004E4C: 0BEB0AFA FF0055FD
	v_mul_f32_dpp v246, v253, v134 quad_perm:[2,2,2,2] row_mask:0xf bank_mask:0xf// 000000004E54: 0BED0CFA FF00AAFD
	v_mul_f32_dpp v247, v253, v135 quad_perm:[3,3,3,3] row_mask:0xf bank_mask:0xf// 000000004E5C: 0BEF0EFA FF00FFFD
	v_mov_b32_e32 v62, 0x358637bd                              // 000000004E64: 7E7C02FF 358637BD
	v_max3_f32 v62, |v240|, |v241|, v62                        // 000000004E6C: D1D3033E 04FBE3F0
	v_max3_f32 v62, |v242|, |v243|, v62                        // 000000004E74: D1D3033E 04FBE7F2
	v_max3_f32 v62, |v244|, |v245|, v62                        // 000000004E7C: D1D3033E 04FBEBF4
	v_max3_f32 v62, |v246|, |v247|, v62                        // 000000004E84: D1D3033E 04FBEFF6
	ds_write_b32 v11, v62 offset:20992                         // 000000004E8C: D81A5200 00003E0B
	v_sub_f32_e32 v63, v14, v18                                // 000000004E94: 047E250E
	v_cndmask_b32_e64 v63, v63, 0, s[40:41]                    // 000000004E98: D100003F 00A1013F
	v_mov_b32_e32 v14, v18                                     // 000000004EA0: 7E1C0312
	v_mul_f32_e32 v63, s64, v63                                // 000000004EA4: 0A7E7E40
	v_exp_f32_e32 v63, v63                                     // 000000004EA8: 7E7E413F
	s_waitcnt lgkmcnt(0)                                       // 000000004EAC: BF8CC07F
	s_barrier                                                  // 000000004EB0: BF8A0000
	ds_read_b32 v80, v10 offset:20992                          // 000000004EB4: D86C5200 5000000A
	ds_read_b32 v81, v10 offset:21056                          // 000000004EBC: D86C5240 5100000A
	ds_read_b32 v82, v10 offset:21120                          // 000000004EC4: D86C5280 5200000A
	ds_read_b32 v83, v10 offset:21184                          // 000000004ECC: D86C52C0 5300000A
	ds_read_b32 v84, v10 offset:21248                          // 000000004ED4: D86C5300 5400000A
	ds_read_b32 v85, v10 offset:21312                          // 000000004EDC: D86C5340 5500000A
	ds_read_b32 v86, v10 offset:21376                          // 000000004EE4: D86C5380 5600000A
	ds_read_b32 v87, v10 offset:21440                          // 000000004EEC: D86C53C0 5700000A
	ds_read_b32 v88, v10 offset:21504                          // 000000004EF4: D86C5400 5800000A
	ds_read_b32 v89, v10 offset:21568                          // 000000004EFC: D86C5440 5900000A
	ds_read_b32 v90, v10 offset:21632                          // 000000004F04: D86C5480 5A00000A
	ds_read_b32 v91, v10 offset:21696                          // 000000004F0C: D86C54C0 5B00000A
	ds_read_b32 v92, v10 offset:21760                          // 000000004F14: D86C5500 5C00000A
	ds_read_b32 v93, v10 offset:21824                          // 000000004F1C: D86C5540 5D00000A
	ds_read_b32 v94, v10 offset:21888                          // 000000004F24: D86C5580 5E00000A
	ds_read_b32 v95, v10 offset:21952                          // 000000004F2C: D86C55C0 5F00000A
	v_mul_f32_e32 v47, v63, v47                                // 000000004F34: 0A5E5F3F
	v_mov_b32_e32 v51, v128                                    // 000000004F38: 7E660380
	v_add_f32_e32 v51, v129, v51                               // 000000004F3C: 02666781
	v_add_f32_e32 v51, v130, v51                               // 000000004F40: 02666782
	v_add_f32_e32 v51, v131, v51                               // 000000004F44: 02666783
	v_add_f32_e32 v51, v132, v51                               // 000000004F48: 02666784
	v_add_f32_e32 v51, v133, v51                               // 000000004F4C: 02666785
	v_add_f32_e32 v51, v134, v51                               // 000000004F50: 02666786
	v_add_f32_e32 v51, v135, v51                               // 000000004F54: 02666787
	v_add_f32_e32 v47, v51, v47                                // 000000004F58: 025E5F33
	s_waitcnt lgkmcnt(0)                                       // 000000004F5C: BF8CC07F
	v_max3_f32 v62, |v80|, |v81|, v62                          // 000000004F60: D1D3033E 04FAA350
	v_max3_f32 v62, |v82|, |v83|, v62                          // 000000004F68: D1D3033E 04FAA752
	v_max3_f32 v62, |v84|, |v85|, v62                          // 000000004F70: D1D3033E 04FAAB54
	v_max3_f32 v62, |v86|, |v87|, v62                          // 000000004F78: D1D3033E 04FAAF56
	v_max3_f32 v62, |v88|, |v89|, v62                          // 000000004F80: D1D3033E 04FAB358
	v_max3_f32 v62, |v90|, |v91|, v62                          // 000000004F88: D1D3033E 04FAB75A
	v_max3_f32 v62, |v92|, |v93|, v62                          // 000000004F90: D1D3033E 04FABB5C
	v_max3_f32 v62, |v94|, |v95|, v62                          // 000000004F98: D1D3033E 04FABF5E
	s_nop 2                                                    // 000000004FA0: BF800002
	v_mov_b32_dpp v41, v62 row_ror:8 row_mask:0xf bank_mask:0xf// 000000004FA4: 7E5202FA FF01283E
	v_max_f32_e32 v62, v62, v41                                // 000000004FAC: 167C533E
	v_rcp_f32_e32 v62, v62                                     // 000000004FB0: 7E7C453E
	s_nop 1                                                    // 000000004FB4: BF800001
	v_mul_f32_e32 v62, 0x42fe0000, v62                         // 000000004FB8: 0A7C7CFF 42FE0000
	v_mul_f32_e32 v128, v62, v240                              // 000000004FC0: 0B01E13E
	v_mul_f32_e32 v129, v62, v241                              // 000000004FC4: 0B03E33E
	v_mul_f32_e32 v130, v62, v242                              // 000000004FC8: 0B05E53E
	v_mul_f32_e32 v131, v62, v243                              // 000000004FCC: 0B07E73E
	v_mul_f32_e32 v132, v62, v244                              // 000000004FD0: 0B09E93E
	v_mul_f32_e32 v133, v62, v245                              // 000000004FD4: 0B0BEB3E
	v_mul_f32_e32 v134, v62, v246                              // 000000004FD8: 0B0DED3E
	v_mul_f32_e32 v135, v62, v247                              // 000000004FDC: 0B0FEF3E
	v_cvt_i32_f32_e32 v128, v128                               // 000000004FE0: 7F001180
	v_cvt_i32_f32_e32 v129, v129                               // 000000004FE4: 7F021181
	v_cvt_i32_f32_e32 v130, v130                               // 000000004FE8: 7F041182
	v_cvt_i32_f32_e32 v131, v131                               // 000000004FEC: 7F061183
	v_cvt_i32_f32_e32 v132, v132                               // 000000004FF0: 7F081184
	v_cvt_i32_f32_e32 v133, v133                               // 000000004FF4: 7F0A1185
	v_cvt_i32_f32_e32 v134, v134                               // 000000004FF8: 7F0C1186
	v_cvt_i32_f32_e32 v135, v135                               // 000000004FFC: 7F0E1187
	v_perm_b32 v128, v129, v128, s53                           // 000000005000: D1ED0080 00D70181
	v_perm_b32 v128, v130, v128, s54                           // 000000005008: D1ED0080 00DB0182
	v_perm_b32 v128, v131, v128, s55                           // 000000005010: D1ED0080 00DF0183
	v_perm_b32 v129, v133, v132, s53                           // 000000005018: D1ED0081 00D70985
	v_perm_b32 v129, v134, v129, s54                           // 000000005020: D1ED0081 00DB0386
	v_perm_b32 v129, v135, v129, s55                           // 000000005028: D1ED0081 00DF0387
	ds_write_b32 v13, v128 offset:25088                        // 000000005030: D81A6200 0000800D
	ds_write_b32 v13, v129 offset:26112                        // 000000005038: D81A6600 0000810D
	v_cvt_f32_i32_e32 v192, v192                               // 000000005040: 7F800BC0
	v_cvt_f32_i32_e32 v193, v193                               // 000000005044: 7F820BC1
	v_cvt_f32_i32_e32 v194, v194                               // 000000005048: 7F840BC2
	v_cvt_f32_i32_e32 v195, v195                               // 00000000504C: 7F860BC3
	v_mul_f32_e32 v192, v58, v192                              // 000000005050: 0B81813A
	v_mul_f32_e32 v193, v58, v193                              // 000000005054: 0B83833A
	v_mul_f32_e32 v194, v58, v194                              // 000000005058: 0B85853A
	v_mul_f32_e32 v195, v58, v195                              // 00000000505C: 0B87873A
	v_rcp_f32_e32 v58, v62                                     // 000000005060: 7E74453E
	s_waitcnt lgkmcnt(0)                                       // 000000005064: BF8CC07F
	s_barrier                                                  // 000000005068: BF8A0000
	ds_read_b64 v[128:129], v12 offset:25088                   // 00000000506C: D8EC6200 8000000C
	ds_read_b64 v[130:131], v12 offset:25216                   // 000000005074: D8EC6280 8200000C
	ds_read_b64 v[132:133], v12 offset:26112                   // 00000000507C: D8EC6600 8400000C
	ds_read_b64 v[134:135], v12 offset:26240                   // 000000005084: D8EC6680 8600000C
	v_add_f32_e32 v224, v224, v192                             // 00000000508C: 03C181E0
	v_add_f32_e32 v225, v225, v193                             // 000000005090: 03C383E1
	v_add_f32_e32 v226, v226, v194                             // 000000005094: 03C585E2
	v_add_f32_e32 v227, v227, v195                             // 000000005098: 03C787E3
	s_waitcnt lgkmcnt(3)                                       // 00000000509C: BF8CC37F
	v_mov_b32_dpp v136, v128 row_shl:8 row_mask:0xf bank_mask:0xf bound_ctrl:1// 0000000050A0: 7F1002FA FF090880
	v_and_b32_e32 v128, v128, v9                               // 0000000050A8: 27001380
	v_mov_b32_dpp v137, v129 row_shl:8 row_mask:0xf bank_mask:0xf bound_ctrl:1// 0000000050AC: 7F1202FA FF090881
	v_and_b32_e32 v129, v129, v9                               // 0000000050B4: 27021381
	s_waitcnt lgkmcnt(2)                                       // 0000000050B8: BF8CC27F
	v_mov_b32_dpp v138, v130 row_shl:8 row_mask:0xf bank_mask:0xf bound_ctrl:1// 0000000050BC: 7F1402FA FF090882
	v_and_b32_e32 v130, v130, v9                               // 0000000050C4: 27041382
	v_mov_b32_dpp v139, v131 row_shl:8 row_mask:0xf bank_mask:0xf bound_ctrl:1// 0000000050C8: 7F1602FA FF090883
	v_and_b32_e32 v131, v131, v9                               // 0000000050D0: 27061383
	s_waitcnt lgkmcnt(1)                                       // 0000000050D4: BF8CC17F
	v_mov_b32_dpp v140, v132 row_shl:8 row_mask:0xf bank_mask:0xf bound_ctrl:1// 0000000050D8: 7F1802FA FF090884
	v_and_b32_e32 v132, v132, v9                               // 0000000050E0: 27081384
	v_mov_b32_dpp v141, v133 row_shl:8 row_mask:0xf bank_mask:0xf bound_ctrl:1// 0000000050E4: 7F1A02FA FF090885
	v_and_b32_e32 v133, v133, v9                               // 0000000050EC: 270A1385
	s_waitcnt lgkmcnt(0)                                       // 0000000050F0: BF8CC07F
	v_mov_b32_dpp v142, v134 row_shl:8 row_mask:0xf bank_mask:0xf bound_ctrl:1// 0000000050F4: 7F1C02FA FF090886
	v_and_b32_e32 v134, v134, v9                               // 0000000050FC: 270C1386
	v_mov_b32_dpp v143, v135 row_shl:8 row_mask:0xf bank_mask:0xf bound_ctrl:1// 000000005100: 7F1E02FA FF090887
	v_and_b32_e32 v135, v135, v9                               // 000000005108: 270E1387
	s_waitcnt vmcnt(0)                                         // 00000000510C: BF8C0F70
	s_barrier                                                  // 000000005110: BF8A0000
	v_mfma_i32_16x16x32_i8 v[192:195], a[64:65], v[128:129], 0 // 000000005114: D3D700C0 0A030140
	v_mfma_i32_16x16x32_i8 v[192:195], a[66:67], v[130:131], v[192:195]// 00000000511C: D3D700C0 0F030542
	v_mfma_i32_16x16x32_i8 v[192:195], a[68:69], v[132:133], v[192:195]// 000000005124: D3D700C0 0F030944
	v_mfma_i32_16x16x32_i8 v[192:195], a[70:71], v[134:135], v[192:195]// 00000000512C: D3D700C0 0F030D46
	v_mfma_i32_16x16x32_i8 v[192:195], a[72:73], v[136:137], v[192:195]// 000000005134: D3D700C0 0F031148
	v_mfma_i32_16x16x32_i8 v[192:195], a[74:75], v[138:139], v[192:195]// 00000000513C: D3D700C0 0F03154A
	v_mfma_i32_16x16x32_i8 v[192:195], a[76:77], v[140:141], v[192:195]// 000000005144: D3D700C0 0F03194C
	v_mfma_i32_16x16x32_i8 v[192:195], a[78:79], v[142:143], v[192:195]// 00000000514C: D3D700C0 0F031D4E
	v_mfma_i32_16x16x32_i8 v[196:199], a[80:81], v[128:129], 0 // 000000005154: D3D700C4 0A030150
	v_mfma_i32_16x16x32_i8 v[196:199], a[82:83], v[130:131], v[196:199]// 00000000515C: D3D700C4 0F130552
	v_mfma_i32_16x16x32_i8 v[196:199], a[84:85], v[132:133], v[196:199]// 000000005164: D3D700C4 0F130954
	v_mfma_i32_16x16x32_i8 v[196:199], a[86:87], v[134:135], v[196:199]// 00000000516C: D3D700C4 0F130D56
	v_mfma_i32_16x16x32_i8 v[196:199], a[88:89], v[136:137], v[196:199]// 000000005174: D3D700C4 0F131158
	v_mfma_i32_16x16x32_i8 v[196:199], a[90:91], v[138:139], v[196:199]// 00000000517C: D3D700C4 0F13155A
	v_mfma_i32_16x16x32_i8 v[196:199], a[92:93], v[140:141], v[196:199]// 000000005184: D3D700C4 0F13195C
	v_mfma_i32_16x16x32_i8 v[196:199], a[94:95], v[142:143], v[196:199]// 00000000518C: D3D700C4 0F131D5E
	s_nop 4                                                    // 000000005194: BF800004
	s_branch label_0DDC                                        // 000000005198: BF8201F5

000000000000519c <label_0BE7>:
	s_waitcnt vmcnt(8) lgkmcnt(0)                              // 00000000519C: BF8C0078
	s_barrier                                                  // 0000000051A0: BF8A0000
	v_mfma_i32_16x16x32_i8 v[128:131], a[32:33], v[96:97], 0   // 0000000051A4: D3D70080 0A02C120
	v_mfma_i32_16x16x32_i8 v[128:131], a[34:35], v[98:99], v[128:131]// 0000000051AC: D3D70080 0E02C522
	v_mfma_i32_16x16x32_i8 v[128:131], a[36:37], v[100:101], v[128:131]// 0000000051B4: D3D70080 0E02C924
	v_mfma_i32_16x16x32_i8 v[128:131], a[38:39], v[102:103], v[128:131]// 0000000051BC: D3D70080 0E02CD26
	v_mfma_i32_16x16x32_i8 v[132:135], a[40:41], v[96:97], 0   // 0000000051C4: D3D70084 0A02C128
	v_mfma_i32_16x16x32_i8 v[132:135], a[42:43], v[98:99], v[132:135]// 0000000051CC: D3D70084 0E12C52A
	v_mfma_i32_16x16x32_i8 v[132:135], a[44:45], v[100:101], v[132:135]// 0000000051D4: D3D70084 0E12C92C
	v_mfma_i32_16x16x32_i8 v[132:135], a[46:47], v[102:103], v[132:135]// 0000000051DC: D3D70084 0E12CD2E
	v_mfma_i32_16x16x32_i8 v[136:139], a[48:49], v[96:97], 0   // 0000000051E4: D3D70088 0A02C130
	v_mfma_i32_16x16x32_i8 v[136:139], a[50:51], v[98:99], v[136:139]// 0000000051EC: D3D70088 0E22C532
	v_mfma_i32_16x16x32_i8 v[136:139], a[52:53], v[100:101], v[136:139]// 0000000051F4: D3D70088 0E22C934
	v_mfma_i32_16x16x32_i8 v[136:139], a[54:55], v[102:103], v[136:139]// 0000000051FC: D3D70088 0E22CD36
	v_mfma_i32_16x16x32_i8 v[140:143], a[56:57], v[96:97], 0   // 000000005204: D3D7008C 0A02C138
	v_mfma_i32_16x16x32_i8 v[140:143], a[58:59], v[98:99], v[140:143]// 00000000520C: D3D7008C 0E32C53A
	v_mfma_i32_16x16x32_i8 v[140:143], a[60:61], v[100:101], v[140:143]// 000000005214: D3D7008C 0E32C93C
	v_mfma_i32_16x16x32_i8 v[140:143], a[62:63], v[102:103], v[140:143]// 00000000521C: D3D7008C 0E32CD3E
	v_mov_b32_dpp v41, v53 row_shr:4 row_mask:0xf bank_mask:0xf// 000000005224: 7E5202FA FF011435
	v_mov_b32_dpp v42, v53 row_shl:4 row_mask:0xf bank_mask:0xf// 00000000522C: 7E5402FA FF010435
	v_cndmask_b32_e64 v248, v53, v41, s[44:45]                 // 000000005234: D10000F8 00B25335
	v_cndmask_b32_e64 v249, v42, v53, s[44:45]                 // 00000000523C: D10000F9 00B26B2A
	v_mov_b32_dpp v41, v73 row_shr:4 row_mask:0xf bank_mask:0xf// 000000005244: 7E5202FA FF011449
	v_mov_b32_dpp v42, v73 row_shl:4 row_mask:0xf bank_mask:0xf// 00000000524C: 7E5402FA FF010449
	v_cndmask_b32_e64 v252, v73, v41, s[44:45]                 // 000000005254: D10000FC 00B25349
	v_cndmask_b32_e64 v253, v42, v73, s[44:45]                 // 00000000525C: D10000FD 00B2932A
	v_or_b32_dpp v128, v136, v128 row_shr:8 row_mask:0xf bank_mask:0xf bound_ctrl:1// 000000005264: 290100FA FF091888
	v_or_b32_dpp v129, v137, v129 row_shr:8 row_mask:0xf bank_mask:0xf bound_ctrl:1// 00000000526C: 290302FA FF091889
	v_or_b32_dpp v130, v138, v130 row_shr:8 row_mask:0xf bank_mask:0xf bound_ctrl:1// 000000005274: 290504FA FF09188A
	v_or_b32_dpp v131, v139, v131 row_shr:8 row_mask:0xf bank_mask:0xf bound_ctrl:1// 00000000527C: 290706FA FF09188B
	v_or_b32_dpp v132, v140, v132 row_shr:8 row_mask:0xf bank_mask:0xf bound_ctrl:1// 000000005284: 290908FA FF09188C
	v_or_b32_dpp v133, v141, v133 row_shr:8 row_mask:0xf bank_mask:0xf bound_ctrl:1// 00000000528C: 290B0AFA FF09188D
	v_or_b32_dpp v134, v142, v134 row_shr:8 row_mask:0xf bank_mask:0xf bound_ctrl:1// 000000005294: 290D0CFA FF09188E
	v_or_b32_dpp v135, v143, v135 row_shr:8 row_mask:0xf bank_mask:0xf bound_ctrl:1// 00000000529C: 290F0EFA FF09188F
	v_cvt_f32_i32_e32 v128, v128                               // 0000000052A4: 7F000B80
	v_cvt_f32_i32_e32 v129, v129                               // 0000000052A8: 7F020B81
	v_cvt_f32_i32_e32 v130, v130                               // 0000000052AC: 7F040B82
	v_cvt_f32_i32_e32 v131, v131                               // 0000000052B0: 7F060B83
	v_cvt_f32_i32_e32 v132, v132                               // 0000000052B4: 7F080B84
	v_cvt_f32_i32_e32 v133, v133                               // 0000000052B8: 7F0A0B85
	v_cvt_f32_i32_e32 v134, v134                               // 0000000052BC: 7F0C0B86
	v_cvt_f32_i32_e32 v135, v135                               // 0000000052C0: 7F0E0B87
	v_mul_f32_e32 v128, v54, v128                              // 0000000052C4: 0B010136
	v_mul_f32_e32 v129, v54, v129                              // 0000000052C8: 0B030336
	v_mul_f32_e32 v130, v54, v130                              // 0000000052CC: 0B050536
	v_mul_f32_e32 v131, v54, v131                              // 0000000052D0: 0B070736
	v_mul_f32_e32 v132, v54, v132                              // 0000000052D4: 0B090936
	v_mul_f32_e32 v133, v54, v133                              // 0000000052D8: 0B0B0B36
	v_mul_f32_e32 v134, v54, v134                              // 0000000052DC: 0B0D0D36
	v_mul_f32_e32 v135, v54, v135                              // 0000000052E0: 0B0F0F36
	v_mul_f32_dpp v128, v248, v128 quad_perm:[0,0,0,0] row_mask:0xf bank_mask:0xf// 0000000052E4: 0B0100FA FF0000F8
	v_mul_f32_dpp v129, v248, v129 quad_perm:[1,1,1,1] row_mask:0xf bank_mask:0xf// 0000000052EC: 0B0302FA FF0055F8
	v_mul_f32_dpp v130, v248, v130 quad_perm:[2,2,2,2] row_mask:0xf bank_mask:0xf// 0000000052F4: 0B0504FA FF00AAF8
	v_mul_f32_dpp v131, v248, v131 quad_perm:[3,3,3,3] row_mask:0xf bank_mask:0xf// 0000000052FC: 0B0706FA FF00FFF8
	v_mul_f32_dpp v132, v249, v132 quad_perm:[0,0,0,0] row_mask:0xf bank_mask:0xf// 000000005304: 0B0908FA FF0000F9
	v_mul_f32_dpp v133, v249, v133 quad_perm:[1,1,1,1] row_mask:0xf bank_mask:0xf// 00000000530C: 0B0B0AFA FF0055F9
	v_mul_f32_dpp v134, v249, v134 quad_perm:[2,2,2,2] row_mask:0xf bank_mask:0xf// 000000005314: 0B0D0CFA FF00AAF9
	v_mul_f32_dpp v135, v249, v135 quad_perm:[3,3,3,3] row_mask:0xf bank_mask:0xf// 00000000531C: 0B0F0EFA FF00FFF9
	s_and_b32 s60, s72, 0xff                                   // 000000005324: 863CFF48 000000FF
	v_mov_b32_e32 v79, s60                                     // 00000000532C: 7E9E023C
	v_lshrrev_b32_e32 v240, 4, v0                              // 000000005330: 21E00084
	v_mul_i32_i24_e32 v240, 4, v240                            // 000000005334: 0DE1E084
	v_and_b32_e32 v41, 15, v0                                  // 000000005338: 2652008F
	v_lshrrev_b32_e32 v41, 3, v41                              // 00000000533C: 20525283
	v_mul_i32_i24_e32 v41, 0x80, v41                           // 000000005340: 0C5252FF 00000080
	v_add_u32_e32 v240, v41, v240                              // 000000005348: 69E1E129
	s_mul_i32 s60, s7, 16                                      // 00000000534C: 923C9007
	v_add_u32_e32 v240, s60, v240                              // 000000005350: 69E1E03C
	v_add_u32_e32 v241, 1, v240                                // 000000005354: 69E3E081
	v_add_u32_e32 v242, 2, v240                                // 000000005358: 69E5E082
	v_add_u32_e32 v243, 3, v240                                // 00000000535C: 69E7E083
	v_cmp_lt_u32_e64 s[40:41], v240, v79                       // 000000005360: D0C90028 00029FF0
	v_add_u32_e32 v240, 64, v240                               // 000000005368: 69E1E0C0
	s_nop 0                                                    // 00000000536C: BF800000
	v_cndmask_b32_e64 v128, v69, v128, s[40:41]                // 000000005370: D1000080 00A30145
	v_cmp_lt_u32_e64 s[40:41], v241, v79                       // 000000005378: D0C90028 00029FF1
	v_add_u32_e32 v241, 64, v241                               // 000000005380: 69E3E2C0
	s_nop 0                                                    // 000000005384: BF800000
	v_cndmask_b32_e64 v129, v69, v129, s[40:41]                // 000000005388: D1000081 00A30345
	v_cmp_lt_u32_e64 s[40:41], v242, v79                       // 000000005390: D0C90028 00029FF2
	v_add_u32_e32 v242, 64, v242                               // 000000005398: 69E5E4C0
	s_nop 0                                                    // 00000000539C: BF800000
	v_cndmask_b32_e64 v130, v69, v130, s[40:41]                // 0000000053A0: D1000082 00A30545
	v_cmp_lt_u32_e64 s[40:41], v243, v79                       // 0000000053A8: D0C90028 00029FF3
	v_add_u32_e32 v243, 64, v243                               // 0000000053B0: 69E7E6C0
	s_nop 0                                                    // 0000000053B4: BF800000
	v_cndmask_b32_e64 v131, v69, v131, s[40:41]                // 0000000053B8: D1000083 00A30745
	v_cmp_lt_u32_e64 s[40:41], v240, v79                       // 0000000053C0: D0C90028 00029FF0
	v_add_u32_e32 v240, 64, v240                               // 0000000053C8: 69E1E0C0
	s_nop 0                                                    // 0000000053CC: BF800000
	v_cndmask_b32_e64 v132, v69, v132, s[40:41]                // 0000000053D0: D1000084 00A30945
	v_cmp_lt_u32_e64 s[40:41], v241, v79                       // 0000000053D8: D0C90028 00029FF1
	v_add_u32_e32 v241, 64, v241                               // 0000000053E0: 69E3E2C0
	s_nop 0                                                    // 0000000053E4: BF800000
	v_cndmask_b32_e64 v133, v69, v133, s[40:41]                // 0000000053E8: D1000085 00A30B45
	v_cmp_lt_u32_e64 s[40:41], v242, v79                       // 0000000053F0: D0C90028 00029FF2
	v_add_u32_e32 v242, 64, v242                               // 0000000053F8: 69E5E4C0
	s_nop 0                                                    // 0000000053FC: BF800000
	v_cndmask_b32_e64 v134, v69, v134, s[40:41]                // 000000005400: D1000086 00A30D45
	v_cmp_lt_u32_e64 s[40:41], v243, v79                       // 000000005408: D0C90028 00029FF3
	v_add_u32_e32 v243, 64, v243                               // 000000005410: 69E7E6C0
	s_nop 0                                                    // 000000005414: BF800000
	v_cndmask_b32_e64 v135, v69, v135, s[40:41]                // 000000005418: D1000087 00A30F45
	v_mov_b32_e32 v62, v128                                    // 000000005420: 7E7C0380
	v_max3_f32 v62, v128, v129, v62                            // 000000005424: D1D3003E 04FB0380
	v_max3_f32 v62, v130, v131, v62                            // 00000000542C: D1D3003E 04FB0782
	v_max3_f32 v62, v132, v133, v62                            // 000000005434: D1D3003E 04FB0B84
	v_max3_f32 v62, v134, v135, v62                            // 00000000543C: D1D3003E 04FB0F86
	ds_write_b32 v11, v62 offset:16896                         // 000000005444: D81A4200 00003E0B
	v_mul_u32_u24_dpp v41, v19, v68 row_newbcast:1 row_mask:0xf bank_mask:0xf// 00000000544C: 105288FA FF015113
	v_mul_u32_u24_dpp v42, v19, v68 row_newbcast:5 row_mask:0xf bank_mask:0xf// 000000005454: 105488FA FF015513
	v_mul_u32_u24_dpp v43, v19, v68 row_newbcast:9 row_mask:0xf bank_mask:0xf// 00000000545C: 105688FA FF015913
	v_mul_u32_u24_dpp v44, v19, v68 row_newbcast:13 row_mask:0xf bank_mask:0xf// 000000005464: 105888FA FF015D13
	v_add_u32_e32 v33, v41, v7                                 // 00000000546C: 68420F29
	v_add_u32_e32 v34, v42, v7                                 // 000000005470: 68440F2A
	v_add_u32_e32 v35, v43, v7                                 // 000000005474: 68460F2B
	v_add_u32_e32 v36, v44, v7                                 // 000000005478: 68480F2C
	s_waitcnt lgkmcnt(0)                                       // 00000000547C: BF8CC07F
	s_barrier                                                  // 000000005480: BF8A0000
	ds_read_b32 v80, v10 offset:16896                          // 000000005484: D86C4200 5000000A
	ds_read_b32 v81, v10 offset:16960                          // 00000000548C: D86C4240 5100000A
	ds_read_b32 v82, v10 offset:17024                          // 000000005494: D86C4280 5200000A
	ds_read_b32 v83, v10 offset:17088                          // 00000000549C: D86C42C0 5300000A
	ds_read_b32 v84, v10 offset:17152                          // 0000000054A4: D86C4300 5400000A
	ds_read_b32 v85, v10 offset:17216                          // 0000000054AC: D86C4340 5500000A
	ds_read_b32 v86, v10 offset:17280                          // 0000000054B4: D86C4380 5600000A
	ds_read_b32 v87, v10 offset:17344                          // 0000000054BC: D86C43C0 5700000A
	ds_read_b32 v88, v10 offset:17408                          // 0000000054C4: D86C4400 5800000A
	ds_read_b32 v89, v10 offset:17472                          // 0000000054CC: D86C4440 5900000A
	ds_read_b32 v90, v10 offset:17536                          // 0000000054D4: D86C4480 5A00000A
	ds_read_b32 v91, v10 offset:17600                          // 0000000054DC: D86C44C0 5B00000A
	ds_read_b32 v92, v10 offset:17664                          // 0000000054E4: D86C4500 5C00000A
	ds_read_b32 v93, v10 offset:17728                          // 0000000054EC: D86C4540 5D00000A
	ds_read_b32 v94, v10 offset:17792                          // 0000000054F4: D86C4580 5E00000A
	ds_read_b32 v95, v10 offset:17856                          // 0000000054FC: D86C45C0 5F00000A
	v_mul_f32_e32 v224, v63, v224                              // 000000005504: 0BC1C13F
	v_mul_f32_e32 v225, v63, v225                              // 000000005508: 0BC3C33F
	v_mul_f32_e32 v226, v63, v226                              // 00000000550C: 0BC5C53F
	v_mul_f32_e32 v227, v63, v227                              // 000000005510: 0BC7C73F
	v_or_b32_dpp v192, v196, v192 row_shr:8 row_mask:0xf bank_mask:0xf bound_ctrl:1// 000000005514: 298180FA FF0918C4
	v_or_b32_dpp v193, v197, v193 row_shr:8 row_mask:0xf bank_mask:0xf bound_ctrl:1// 00000000551C: 298382FA FF0918C5
	v_or_b32_dpp v194, v198, v194 row_shr:8 row_mask:0xf bank_mask:0xf bound_ctrl:1// 000000005524: 298584FA FF0918C6
	v_or_b32_dpp v195, v199, v195 row_shr:8 row_mask:0xf bank_mask:0xf bound_ctrl:1// 00000000552C: 298786FA FF0918C7
	s_waitcnt lgkmcnt(0)                                       // 000000005534: BF8CC07F
	v_max3_f32 v62, v80, v81, v62                              // 000000005538: D1D3003E 04FAA350
	v_max3_f32 v62, v82, v83, v62                              // 000000005540: D1D3003E 04FAA752
	v_max3_f32 v62, v84, v85, v62                              // 000000005548: D1D3003E 04FAAB54
	v_max3_f32 v62, v86, v87, v62                              // 000000005550: D1D3003E 04FAAF56
	v_max3_f32 v62, v88, v89, v62                              // 000000005558: D1D3003E 04FAB358
	v_max3_f32 v62, v90, v91, v62                              // 000000005560: D1D3003E 04FAB75A
	v_max3_f32 v62, v92, v93, v62                              // 000000005568: D1D3003E 04FABB5C
	v_max3_f32 v62, v94, v95, v62                              // 000000005570: D1D3003E 04FABF5E
	v_cmp_eq_u32_e64 s[40:41], v69, v14                        // 000000005578: D0CA0028 00021D45
	s_nop 1                                                    // 000000005580: BF800001
	v_mov_b32_dpp v41, v62 row_ror:8 row_mask:0xf bank_mask:0xf// 000000005584: 7E5202FA FF01283E
	v_max_f32_e32 v62, v62, v41                                // 00000000558C: 167C533E
	v_max_f32_e32 v18, v62, v14                                // 000000005590: 16241D3E
	v_mul_f32_e32 v67, s64, v18                                // 000000005594: 0A862440
	v_fma_f32 v128, v128, s64, -v67                            // 000000005598: D1CB0080 850C8180
	v_fma_f32 v129, v129, s64, -v67                            // 0000000055A0: D1CB0081 850C8181
	v_fma_f32 v130, v130, s64, -v67                            // 0000000055A8: D1CB0082 850C8182
	v_fma_f32 v131, v131, s64, -v67                            // 0000000055B0: D1CB0083 850C8183
	v_fma_f32 v132, v132, s64, -v67                            // 0000000055B8: D1CB0084 850C8184
	v_fma_f32 v133, v133, s64, -v67                            // 0000000055C0: D1CB0085 850C8185
	v_fma_f32 v134, v134, s64, -v67                            // 0000000055C8: D1CB0086 850C8186
	v_fma_f32 v135, v135, s64, -v67                            // 0000000055D0: D1CB0087 850C8187
	v_exp_f32_e32 v128, v128                                   // 0000000055D8: 7F004180
	v_exp_f32_e32 v129, v129                                   // 0000000055DC: 7F024181
	v_exp_f32_e32 v130, v130                                   // 0000000055E0: 7F044182
	v_exp_f32_e32 v131, v131                                   // 0000000055E4: 7F064183
	v_exp_f32_e32 v132, v132                                   // 0000000055E8: 7F084184
	v_exp_f32_e32 v133, v133                                   // 0000000055EC: 7F0A4185
	v_exp_f32_e32 v134, v134                                   // 0000000055F0: 7F0C4186
	v_exp_f32_e32 v135, v135                                   // 0000000055F4: 7F0E4187
	v_mul_f32_dpp v240, v252, v128 quad_perm:[0,0,0,0] row_mask:0xf bank_mask:0xf// 0000000055F8: 0BE100FA FF0000FC
	v_mul_f32_dpp v241, v252, v129 quad_perm:[1,1,1,1] row_mask:0xf bank_mask:0xf// 000000005600: 0BE302FA FF0055FC
	v_mul_f32_dpp v242, v252, v130 quad_perm:[2,2,2,2] row_mask:0xf bank_mask:0xf// 000000005608: 0BE504FA FF00AAFC
	v_mul_f32_dpp v243, v252, v131 quad_perm:[3,3,3,3] row_mask:0xf bank_mask:0xf// 000000005610: 0BE706FA FF00FFFC
	v_mul_f32_dpp v244, v253, v132 quad_perm:[0,0,0,0] row_mask:0xf bank_mask:0xf// 000000005618: 0BE908FA FF0000FD
	v_mul_f32_dpp v245, v253, v133 quad_perm:[1,1,1,1] row_mask:0xf bank_mask:0xf// 000000005620: 0BEB0AFA FF0055FD
	v_mul_f32_dpp v246, v253, v134 quad_perm:[2,2,2,2] row_mask:0xf bank_mask:0xf// 000000005628: 0BED0CFA FF00AAFD
	v_mul_f32_dpp v247, v253, v135 quad_perm:[3,3,3,3] row_mask:0xf bank_mask:0xf// 000000005630: 0BEF0EFA FF00FFFD
	v_mov_b32_e32 v62, 0x358637bd                              // 000000005638: 7E7C02FF 358637BD
	v_max3_f32 v62, |v240|, |v241|, v62                        // 000000005640: D1D3033E 04FBE3F0
	v_max3_f32 v62, |v242|, |v243|, v62                        // 000000005648: D1D3033E 04FBE7F2
	v_max3_f32 v62, |v244|, |v245|, v62                        // 000000005650: D1D3033E 04FBEBF4
	v_max3_f32 v62, |v246|, |v247|, v62                        // 000000005658: D1D3033E 04FBEFF6
	ds_write_b32 v11, v62 offset:20992                         // 000000005660: D81A5200 00003E0B
	v_sub_f32_e32 v63, v14, v18                                // 000000005668: 047E250E
	v_cndmask_b32_e64 v63, v63, 0, s[40:41]                    // 00000000566C: D100003F 00A1013F
	v_mov_b32_e32 v14, v18                                     // 000000005674: 7E1C0312
	v_mul_f32_e32 v63, s64, v63                                // 000000005678: 0A7E7E40
	v_exp_f32_e32 v63, v63                                     // 00000000567C: 7E7E413F
	s_waitcnt lgkmcnt(0)                                       // 000000005680: BF8CC07F
	s_barrier                                                  // 000000005684: BF8A0000
	ds_read_b32 v80, v10 offset:20992                          // 000000005688: D86C5200 5000000A
	ds_read_b32 v81, v10 offset:21056                          // 000000005690: D86C5240 5100000A
	ds_read_b32 v82, v10 offset:21120                          // 000000005698: D86C5280 5200000A
	ds_read_b32 v83, v10 offset:21184                          // 0000000056A0: D86C52C0 5300000A
	ds_read_b32 v84, v10 offset:21248                          // 0000000056A8: D86C5300 5400000A
	ds_read_b32 v85, v10 offset:21312                          // 0000000056B0: D86C5340 5500000A
	ds_read_b32 v86, v10 offset:21376                          // 0000000056B8: D86C5380 5600000A
	ds_read_b32 v87, v10 offset:21440                          // 0000000056C0: D86C53C0 5700000A
	ds_read_b32 v88, v10 offset:21504                          // 0000000056C8: D86C5400 5800000A
	ds_read_b32 v89, v10 offset:21568                          // 0000000056D0: D86C5440 5900000A
	ds_read_b32 v90, v10 offset:21632                          // 0000000056D8: D86C5480 5A00000A
	ds_read_b32 v91, v10 offset:21696                          // 0000000056E0: D86C54C0 5B00000A
	ds_read_b32 v92, v10 offset:21760                          // 0000000056E8: D86C5500 5C00000A
	ds_read_b32 v93, v10 offset:21824                          // 0000000056F0: D86C5540 5D00000A
	ds_read_b32 v94, v10 offset:21888                          // 0000000056F8: D86C5580 5E00000A
	ds_read_b32 v95, v10 offset:21952                          // 000000005700: D86C55C0 5F00000A
	v_mul_f32_e32 v47, v63, v47                                // 000000005708: 0A5E5F3F
	v_mov_b32_e32 v51, v128                                    // 00000000570C: 7E660380
	v_add_f32_e32 v51, v129, v51                               // 000000005710: 02666781
	v_add_f32_e32 v51, v130, v51                               // 000000005714: 02666782
	;; [unrolled: 1-line block ×3, first 2 shown]
	v_add_f32_e32 v51, v132, v51                               // 00000000571C: 02666784
	v_add_f32_e32 v51, v133, v51                               // 000000005720: 02666785
	v_add_f32_e32 v51, v134, v51                               // 000000005724: 02666786
	;; [unrolled: 1-line block ×3, first 2 shown]
	v_add_f32_e32 v47, v51, v47                                // 00000000572C: 025E5F33
	s_waitcnt lgkmcnt(0)                                       // 000000005730: BF8CC07F
	v_max3_f32 v62, |v80|, |v81|, v62                          // 000000005734: D1D3033E 04FAA350
	v_max3_f32 v62, |v82|, |v83|, v62                          // 00000000573C: D1D3033E 04FAA752
	v_max3_f32 v62, |v84|, |v85|, v62                          // 000000005744: D1D3033E 04FAAB54
	v_max3_f32 v62, |v86|, |v87|, v62                          // 00000000574C: D1D3033E 04FAAF56
	v_max3_f32 v62, |v88|, |v89|, v62                          // 000000005754: D1D3033E 04FAB358
	v_max3_f32 v62, |v90|, |v91|, v62                          // 00000000575C: D1D3033E 04FAB75A
	v_max3_f32 v62, |v92|, |v93|, v62                          // 000000005764: D1D3033E 04FABB5C
	v_max3_f32 v62, |v94|, |v95|, v62                          // 00000000576C: D1D3033E 04FABF5E
	s_nop 2                                                    // 000000005774: BF800002
	v_mov_b32_dpp v41, v62 row_ror:8 row_mask:0xf bank_mask:0xf// 000000005778: 7E5202FA FF01283E
	v_max_f32_e32 v62, v62, v41                                // 000000005780: 167C533E
	v_rcp_f32_e32 v62, v62                                     // 000000005784: 7E7C453E
	s_nop 1                                                    // 000000005788: BF800001
	v_mul_f32_e32 v62, 0x42fe0000, v62                         // 00000000578C: 0A7C7CFF 42FE0000
	v_mul_f32_e32 v128, v62, v240                              // 000000005794: 0B01E13E
	v_mul_f32_e32 v129, v62, v241                              // 000000005798: 0B03E33E
	v_mul_f32_e32 v130, v62, v242                              // 00000000579C: 0B05E53E
	v_mul_f32_e32 v131, v62, v243                              // 0000000057A0: 0B07E73E
	v_mul_f32_e32 v132, v62, v244                              // 0000000057A4: 0B09E93E
	v_mul_f32_e32 v133, v62, v245                              // 0000000057A8: 0B0BEB3E
	v_mul_f32_e32 v134, v62, v246                              // 0000000057AC: 0B0DED3E
	v_mul_f32_e32 v135, v62, v247                              // 0000000057B0: 0B0FEF3E
	v_cvt_i32_f32_e32 v128, v128                               // 0000000057B4: 7F001180
	v_cvt_i32_f32_e32 v129, v129                               // 0000000057B8: 7F021181
	v_cvt_i32_f32_e32 v130, v130                               // 0000000057BC: 7F041182
	v_cvt_i32_f32_e32 v131, v131                               // 0000000057C0: 7F061183
	v_cvt_i32_f32_e32 v132, v132                               // 0000000057C4: 7F081184
	v_cvt_i32_f32_e32 v133, v133                               // 0000000057C8: 7F0A1185
	v_cvt_i32_f32_e32 v134, v134                               // 0000000057CC: 7F0C1186
	v_cvt_i32_f32_e32 v135, v135                               // 0000000057D0: 7F0E1187
	v_perm_b32 v128, v129, v128, s53                           // 0000000057D4: D1ED0080 00D70181
	v_perm_b32 v128, v130, v128, s54                           // 0000000057DC: D1ED0080 00DB0182
	v_perm_b32 v128, v131, v128, s55                           // 0000000057E4: D1ED0080 00DF0183
	v_perm_b32 v129, v133, v132, s53                           // 0000000057EC: D1ED0081 00D70985
	v_perm_b32 v129, v134, v129, s54                           // 0000000057F4: D1ED0081 00DB0386
	v_perm_b32 v129, v135, v129, s55                           // 0000000057FC: D1ED0081 00DF0387
	ds_write_b32 v13, v128 offset:25088                        // 000000005804: D81A6200 0000800D
	ds_write_b32 v13, v129 offset:26112                        // 00000000580C: D81A6600 0000810D
	v_cvt_f32_i32_e32 v192, v192                               // 000000005814: 7F800BC0
	v_cvt_f32_i32_e32 v193, v193                               // 000000005818: 7F820BC1
	v_cvt_f32_i32_e32 v194, v194                               // 00000000581C: 7F840BC2
	v_cvt_f32_i32_e32 v195, v195                               // 000000005820: 7F860BC3
	v_mul_f32_e32 v192, v58, v192                              // 000000005824: 0B81813A
	v_mul_f32_e32 v193, v58, v193                              // 000000005828: 0B83833A
	v_mul_f32_e32 v194, v58, v194                              // 00000000582C: 0B85853A
	v_mul_f32_e32 v195, v58, v195                              // 000000005830: 0B87873A
	v_rcp_f32_e32 v58, v62                                     // 000000005834: 7E74453E
	s_waitcnt lgkmcnt(0)                                       // 000000005838: BF8CC07F
	s_barrier                                                  // 00000000583C: BF8A0000
	ds_read_b64 v[128:129], v12 offset:25088                   // 000000005840: D8EC6200 8000000C
	ds_read_b64 v[130:131], v12 offset:25216                   // 000000005848: D8EC6280 8200000C
	ds_read_b64 v[132:133], v12 offset:26112                   // 000000005850: D8EC6600 8400000C
	ds_read_b64 v[134:135], v12 offset:26240                   // 000000005858: D8EC6680 8600000C
	v_add_f32_e32 v224, v224, v192                             // 000000005860: 03C181E0
	v_add_f32_e32 v225, v225, v193                             // 000000005864: 03C383E1
	v_add_f32_e32 v226, v226, v194                             // 000000005868: 03C585E2
	v_add_f32_e32 v227, v227, v195                             // 00000000586C: 03C787E3
	s_waitcnt lgkmcnt(3)                                       // 000000005870: BF8CC37F
	v_mov_b32_dpp v136, v128 row_shl:8 row_mask:0xf bank_mask:0xf bound_ctrl:1// 000000005874: 7F1002FA FF090880
	v_and_b32_e32 v128, v128, v9                               // 00000000587C: 27001380
	v_mov_b32_dpp v137, v129 row_shl:8 row_mask:0xf bank_mask:0xf bound_ctrl:1// 000000005880: 7F1202FA FF090881
	v_and_b32_e32 v129, v129, v9                               // 000000005888: 27021381
	s_waitcnt lgkmcnt(2)                                       // 00000000588C: BF8CC27F
	v_mov_b32_dpp v138, v130 row_shl:8 row_mask:0xf bank_mask:0xf bound_ctrl:1// 000000005890: 7F1402FA FF090882
	v_and_b32_e32 v130, v130, v9                               // 000000005898: 27041382
	v_mov_b32_dpp v139, v131 row_shl:8 row_mask:0xf bank_mask:0xf bound_ctrl:1// 00000000589C: 7F1602FA FF090883
	v_and_b32_e32 v131, v131, v9                               // 0000000058A4: 27061383
	s_waitcnt lgkmcnt(1)                                       // 0000000058A8: BF8CC17F
	v_mov_b32_dpp v140, v132 row_shl:8 row_mask:0xf bank_mask:0xf bound_ctrl:1// 0000000058AC: 7F1802FA FF090884
	v_and_b32_e32 v132, v132, v9                               // 0000000058B4: 27081384
	v_mov_b32_dpp v141, v133 row_shl:8 row_mask:0xf bank_mask:0xf bound_ctrl:1// 0000000058B8: 7F1A02FA FF090885
	v_and_b32_e32 v133, v133, v9                               // 0000000058C0: 270A1385
	s_waitcnt lgkmcnt(0)                                       // 0000000058C4: BF8CC07F
	v_mov_b32_dpp v142, v134 row_shl:8 row_mask:0xf bank_mask:0xf bound_ctrl:1// 0000000058C8: 7F1C02FA FF090886
	v_and_b32_e32 v134, v134, v9                               // 0000000058D0: 270C1386
	v_mov_b32_dpp v143, v135 row_shl:8 row_mask:0xf bank_mask:0xf bound_ctrl:1// 0000000058D4: 7F1E02FA FF090887
	v_and_b32_e32 v135, v135, v9                               // 0000000058DC: 270E1387
	s_waitcnt vmcnt(0)                                         // 0000000058E0: BF8C0F70
	s_barrier                                                  // 0000000058E4: BF8A0000
	v_mfma_i32_16x16x32_i8 v[192:195], a[96:97], v[128:129], 0 // 0000000058E8: D3D700C0 0A030160
	v_mfma_i32_16x16x32_i8 v[192:195], a[98:99], v[130:131], v[192:195]// 0000000058F0: D3D700C0 0F030562
	v_mfma_i32_16x16x32_i8 v[192:195], a[100:101], v[132:133], v[192:195]// 0000000058F8: D3D700C0 0F030964
	v_mfma_i32_16x16x32_i8 v[192:195], a[102:103], v[134:135], v[192:195]// 000000005900: D3D700C0 0F030D66
	v_mfma_i32_16x16x32_i8 v[192:195], a[104:105], v[136:137], v[192:195]// 000000005908: D3D700C0 0F031168
	v_mfma_i32_16x16x32_i8 v[192:195], a[106:107], v[138:139], v[192:195]// 000000005910: D3D700C0 0F03156A
	v_mfma_i32_16x16x32_i8 v[192:195], a[108:109], v[140:141], v[192:195]// 000000005918: D3D700C0 0F03196C
	v_mfma_i32_16x16x32_i8 v[192:195], a[110:111], v[142:143], v[192:195]// 000000005920: D3D700C0 0F031D6E
	v_mfma_i32_16x16x32_i8 v[196:199], a[112:113], v[128:129], 0// 000000005928: D3D700C4 0A030170
	v_mfma_i32_16x16x32_i8 v[196:199], a[114:115], v[130:131], v[196:199]// 000000005930: D3D700C4 0F130572
	v_mfma_i32_16x16x32_i8 v[196:199], a[116:117], v[132:133], v[196:199]// 000000005938: D3D700C4 0F130974
	v_mfma_i32_16x16x32_i8 v[196:199], a[118:119], v[134:135], v[196:199]// 000000005940: D3D700C4 0F130D76
	v_mfma_i32_16x16x32_i8 v[196:199], a[120:121], v[136:137], v[196:199]// 000000005948: D3D700C4 0F131178
	v_mfma_i32_16x16x32_i8 v[196:199], a[122:123], v[138:139], v[196:199]// 000000005950: D3D700C4 0F13157A
	v_mfma_i32_16x16x32_i8 v[196:199], a[124:125], v[140:141], v[196:199]// 000000005958: D3D700C4 0F13197C
	v_mfma_i32_16x16x32_i8 v[196:199], a[126:127], v[142:143], v[196:199]// 000000005960: D3D700C4 0F131D7E
	s_nop 4                                                    // 000000005968: BF800004
	s_branch label_0DDC                                        // 00000000596C: BF820000

0000000000005970 <label_0DDC>:
	v_mul_f32_e32 v224, v63, v224                              // 000000005970: 0BC1C13F
	v_mul_f32_e32 v225, v63, v225                              // 000000005974: 0BC3C33F
	v_mul_f32_e32 v226, v63, v226                              // 000000005978: 0BC5C53F
	v_mul_f32_e32 v227, v63, v227                              // 00000000597C: 0BC7C73F
	v_or_b32_dpp v192, v196, v192 row_shr:8 row_mask:0xf bank_mask:0xf bound_ctrl:1// 000000005980: 298180FA FF0918C4
	v_or_b32_dpp v193, v197, v193 row_shr:8 row_mask:0xf bank_mask:0xf bound_ctrl:1// 000000005988: 298382FA FF0918C5
	v_or_b32_dpp v194, v198, v194 row_shr:8 row_mask:0xf bank_mask:0xf bound_ctrl:1// 000000005990: 298584FA FF0918C6
	v_or_b32_dpp v195, v199, v195 row_shr:8 row_mask:0xf bank_mask:0xf bound_ctrl:1// 000000005998: 298786FA FF0918C7
	v_cvt_f32_i32_e32 v192, v192                               // 0000000059A0: 7F800BC0
	v_cvt_f32_i32_e32 v193, v193                               // 0000000059A4: 7F820BC1
	v_cvt_f32_i32_e32 v194, v194                               // 0000000059A8: 7F840BC2
	v_cvt_f32_i32_e32 v195, v195                               // 0000000059AC: 7F860BC3
	v_mul_f32_e32 v192, v58, v192                              // 0000000059B0: 0B81813A
	v_mul_f32_e32 v193, v58, v193                              // 0000000059B4: 0B83833A
	v_mul_f32_e32 v194, v58, v194                              // 0000000059B8: 0B85853A
	v_mul_f32_e32 v195, v58, v195                              // 0000000059BC: 0B87873A
	v_add_f32_e32 v224, v224, v192                             // 0000000059C0: 03C181E0
	v_add_f32_e32 v225, v225, v193                             // 0000000059C4: 03C383E1
	v_add_f32_e32 v226, v226, v194                             // 0000000059C8: 03C585E2
	v_add_f32_e32 v227, v227, v195                             // 0000000059CC: 03C787E3
	ds_write_b32 v11, v47 offset:16896                         // 0000000059D0: D81A4200 00002F0B
	s_waitcnt lgkmcnt(0)                                       // 0000000059D8: BF8CC07F
	s_barrier                                                  // 0000000059DC: BF8A0000
	ds_read_b32 v80, v10 offset:16896                          // 0000000059E0: D86C4200 5000000A
	ds_read_b32 v81, v10 offset:16960                          // 0000000059E8: D86C4240 5100000A
	ds_read_b32 v82, v10 offset:17024                          // 0000000059F0: D86C4280 5200000A
	ds_read_b32 v83, v10 offset:17088                          // 0000000059F8: D86C42C0 5300000A
	ds_read_b32 v84, v10 offset:17152                          // 000000005A00: D86C4300 5400000A
	ds_read_b32 v85, v10 offset:17216                          // 000000005A08: D86C4340 5500000A
	ds_read_b32 v86, v10 offset:17280                          // 000000005A10: D86C4380 5600000A
	ds_read_b32 v87, v10 offset:17344                          // 000000005A18: D86C43C0 5700000A
	ds_read_b32 v88, v10 offset:17408                          // 000000005A20: D86C4400 5800000A
	ds_read_b32 v89, v10 offset:17472                          // 000000005A28: D86C4440 5900000A
	ds_read_b32 v90, v10 offset:17536                          // 000000005A30: D86C4480 5A00000A
	ds_read_b32 v91, v10 offset:17600                          // 000000005A38: D86C44C0 5B00000A
	ds_read_b32 v92, v10 offset:17664                          // 000000005A40: D86C4500 5C00000A
	ds_read_b32 v93, v10 offset:17728                          // 000000005A48: D86C4540 5D00000A
	ds_read_b32 v94, v10 offset:17792                          // 000000005A50: D86C4580 5E00000A
	ds_read_b32 v95, v10 offset:17856                          // 000000005A58: D86C45C0 5F00000A
	s_waitcnt lgkmcnt(0)                                       // 000000005A60: BF8CC07F
	v_mov_b32_e32 v47, 0                                       // 000000005A64: 7E5E0280
	v_add_f32_e32 v47, v80, v47                                // 000000005A68: 025E5F50
	v_add_f32_e32 v47, v81, v47                                // 000000005A6C: 025E5F51
	v_add_f32_e32 v47, v82, v47                                // 000000005A70: 025E5F52
	v_add_f32_e32 v47, v83, v47                                // 000000005A74: 025E5F53
	v_add_f32_e32 v47, v84, v47                                // 000000005A78: 025E5F54
	v_add_f32_e32 v47, v85, v47                                // 000000005A7C: 025E5F55
	v_add_f32_e32 v47, v86, v47                                // 000000005A80: 025E5F56
	v_add_f32_e32 v47, v87, v47                                // 000000005A84: 025E5F57
	v_add_f32_e32 v47, v88, v47                                // 000000005A88: 025E5F58
	v_add_f32_e32 v47, v89, v47                                // 000000005A8C: 025E5F59
	v_add_f32_e32 v47, v90, v47                                // 000000005A90: 025E5F5A
	v_add_f32_e32 v47, v91, v47                                // 000000005A94: 025E5F5B
	v_add_f32_e32 v47, v92, v47                                // 000000005A98: 025E5F5C
	v_add_f32_e32 v47, v93, v47                                // 000000005A9C: 025E5F5D
	v_add_f32_e32 v47, v94, v47                                // 000000005AA0: 025E5F5E
	v_add_f32_e32 v47, v95, v47                                // 000000005AA4: 025E5F5F
	s_nop 1                                                    // 000000005AA8: BF800001
	v_mov_b32_dpp v41, v47 row_ror:8 row_mask:0xf bank_mask:0xf// 000000005AAC: 7E5202FA FF01282F
	v_add_f32_e32 v47, v47, v41                                // 000000005AB4: 025E532F
	v_rcp_f32_e32 v47, v47                                     // 000000005AB8: 7E5E452F
	s_nop 1                                                    // 000000005ABC: BF800001
	v_mul_f32_e32 v224, v47, v224                              // 000000005AC0: 0BC1C12F
	v_mul_f32_e32 v225, v47, v225                              // 000000005AC4: 0BC3C32F
	v_mul_f32_e32 v226, v47, v226                              // 000000005AC8: 0BC5C52F
	v_mul_f32_e32 v227, v47, v227                              // 000000005ACC: 0BC7C72F
	v_cvt_pkrtz_f16_f32 v41, v224, v225                        // 000000005AD0: D2960029 0003C3E0
	v_mov_b32_e32 v224, v41                                    // 000000005AD8: 7FC00329
	v_cvt_pkrtz_f16_f32 v41, v226, v227                        // 000000005ADC: D2960029 0003C7E2
	v_mov_b32_e32 v225, v41                                    // 000000005AE4: 7FC20329
	s_nop 1                                                    // 000000005AE8: BF800001
	v_mov_b32_dpp v226, v224 row_shl:8 row_mask:0xf bank_mask:0xf bound_ctrl:1// 000000005AEC: 7FC402FA FF0908E0
	v_and_b32_e32 v224, v224, v9                               // 000000005AF4: 27C013E0
	v_mov_b32_dpp v227, v225 row_shl:8 row_mask:0xf bank_mask:0xf bound_ctrl:1// 000000005AF8: 7FC602FA FF0908E1
	v_and_b32_e32 v225, v225, v9                               // 000000005B00: 27C213E1
	v_lshrrev_b32_e32 v41, 4, v0                               // 000000005B04: 20520084
	v_mul_i32_i24_e32 v5, 34, v41                              // 000000005B08: 0C0A52A2
	v_and_b32_e32 v41, 15, v0                                  // 000000005B0C: 2652008F
	v_mul_i32_i24_e32 v42, 2, v41                              // 000000005B10: 0C545282
	v_add_u32_e32 v5, v42, v5                                  // 000000005B14: 680A0B2A
	s_mul_i32 s60, s7, 0x88                                    // 000000005B18: 923CFF07 00000088
	v_add_u32_e32 v5, s60, v5                                  // 000000005B20: 680A0A3C
	v_lshlrev_b32_e32 v5, 2, v5                                // 000000005B24: 240A0A82
	ds_write_b64 v5, v[224:225] offset:41472                   // 000000005B28: D89AA200 0000E005
	ds_write_b64 v5, v[226:227] offset:43648                   // 000000005B30: D89AAA80 0000E205
	v_lshrrev_b32_e32 v41, 1, v0                               // 000000005B38: 20520081
	v_mul_i32_i24_e32 v5, 34, v41                              // 000000005B3C: 0C0A52A2
	v_and_b32_e32 v42, 1, v0                                   // 000000005B40: 26540081
	v_add_u32_e32 v5, v42, v5                                  // 000000005B44: 680A0B2A
	s_mul_i32 s60, s7, 2                                       // 000000005B48: 923C8207
	v_add_u32_e32 v5, s60, v5                                  // 000000005B4C: 680A0A3C
	v_lshlrev_b32_e32 v5, 2, v5                                // 000000005B50: 240A0A82
	s_waitcnt lgkmcnt(0)                                       // 000000005B54: BF8CC07F
	s_barrier                                                  // 000000005B58: BF8A0000
	ds_read_b32 v224, v5 offset:41472                          // 000000005B5C: D86CA200 E0000005
	ds_read_b32 v225, v5 offset:41504                          // 000000005B64: D86CA220 E1000005
	s_waitcnt lgkmcnt(0)                                       // 000000005B6C: BF8CC07F
	buffer_store_dword v224, v8, s[8:11], 0 offen              // 000000005B70: E0701000 8002E008
	buffer_store_dword v225, v8, s[8:11], 0 offen offset:1024  // 000000005B78: E0701400 8002E108
	s_mul_i32 s60, 0x100, s77                                  // 000000005B80: 923C4DFF 00000100
	s_add_u32 s8, s60, s8                                      // 000000005B88: 8008083C
	s_addc_u32 s9, 0, s9                                       // 000000005B8C: 82090980
	s_branch label_41A4                                        // 000000005B90: BF82333F

0000000000005b94 <label_0E65>:
	s_mul_i32 s60, s3, s65                                     // 000000005B94: 923C4103
	s_mul_i32 s60, s60, 4                                      // 000000005B98: 923C843C
	s_add_u32 s24, s60, s24                                    // 000000005B9C: 8018183C
	s_addc_u32 s25, 0, s25                                     // 000000005BA0: 82191980
	s_mov_b32 s56, 64                                          // 000000005BA4: BEB800C0
	s_add_u32 s73, s72, 15                                     // 000000005BA8: 80498F48
	s_lshr_b32 s73, s73, 4                                     // 000000005BAC: 8F498449
	s_mul_i32 s60, s73, 4                                      // 000000005BB0: 923C8449
	s_mov_b32 s26, s60                                         // 000000005BB4: BE9A003C
	v_and_b32_e32 v42, 3, v0                                   // 000000005BB8: 26540083
	v_cmp_eq_u32_e64 s[60:61], 0, v42                          // 000000005BBC: D0CA003C 00025480
	v_and_b32_e32 v41, 12, v0                                  // 000000005BC4: 2652008C
	v_add_u32_e32 v1, s7, v41                                  // 000000005BC8: 68025207
	v_cndmask_b32_e64 v1, 0, v1, s[60:61]                      // 000000005BCC: D1000001 00F20280
	v_and_b32_e32 v42, 3, v0                                   // 000000005BD4: 26540083
	v_cmp_eq_u32_e64 s[60:61], 1, v42                          // 000000005BD8: D0CA003C 00025481
	v_lshrrev_b32_e32 v41, 4, v0                               // 000000005BE0: 20520084
	v_and_b32_e32 v42, 12, v0                                  // 000000005BE4: 2654008C
	v_add_u32_e32 v41, v42, v41                                // 000000005BE8: 6852532A
	v_cndmask_b32_e64 v41, 0, v41, s[60:61]                    // 000000005BEC: D1000029 00F25280
	v_add_u32_e32 v1, v1, v41                                  // 000000005BF4: 68025301
	v_lshlrev_b32_e32 v1, 2, v1                                // 000000005BF8: 24020282
	buffer_load_dword v19, v1, s[24:27], 0 offen               // 000000005BFC: E0501000 80061301
	v_add_u32_e32 v1, s56, v1                                  // 000000005C04: 68020238
	buffer_load_dword v20, v1, s[24:27], 0 offen               // 000000005C08: E0501000 80061401
	s_cmp_le_u32 s73, 32                                       // 000000005C10: BF0BA049
	s_cselect_b32 s56, 0, s56                                  // 000000005C14: 85383880
	s_mul_i32 s60, s2, s67                                     // 000000005C18: 923C4302
	s_mul_i32 s61, s84, s74                                    // 000000005C1C: 923D4A54
	s_add_u32 s60, s60, s61                                    // 000000005C20: 803C3D3C
	s_add_u32 s12, s60, s12                                    // 000000005C24: 800C0C3C
	s_addc_u32 s13, 0, s13                                     // 000000005C28: 820D0D80
	s_mul_i32 s60, s7, 0x108                                   // 000000005C2C: 923CFF07 00000108
	s_add_u32 m0, 0, s60                                       // 000000005C34: 807C3C80
	s_mul_i32 s60, s7, 0x100                                   // 000000005C38: 923CFF07 00000100
	v_lshlrev_b32_e32 v41, 2, v0                               // 000000005C40: 24520082
	v_add_u32_e64 v41, v41, s60                                // 000000005C44: D1340029 00007929
	v_add_u32_e32 v42, 0x400, v41                              // 000000005C4C: 685452FF 00000400
	buffer_load_dword v41, s[12:15], 0 offen lds               // 000000005C54: E0511000 80030029
	s_mul_i32 s60, 4, 0x108                                    // 000000005C5C: 923CFF84 00000108
	s_add_u32 m0, m0, s60                                      // 000000005C64: 807C3C7C
	buffer_load_dword v42, s[12:15], 0 offen lds               // 000000005C68: E0511000 8003002A
	s_mul_i32 s60, 4, 0x108                                    // 000000005C70: 923CFF84 00000108
	s_add_u32 m0, m0, s60                                      // 000000005C78: 807C3C7C
	s_add_u32 s12, s74, s12                                    // 000000005C7C: 800C0C4A
	s_addc_u32 s13, 0, s13                                     // 000000005C80: 820D0D80
	buffer_load_dword v41, s[12:15], 0 offen lds               // 000000005C84: E0511000 80030029
	s_mul_i32 s60, 4, 0x108                                    // 000000005C8C: 923CFF84 00000108
	s_add_u32 m0, m0, s60                                      // 000000005C94: 807C3C7C
	buffer_load_dword v42, s[12:15], 0 offen lds               // 000000005C98: E0511000 8003002A
	s_mul_i32 s60, 4, 0x108                                    // 000000005CA0: 923CFF84 00000108
	s_add_u32 m0, m0, s60                                      // 000000005CA8: 807C3C7C
	v_lshrrev_b32_e32 v41, 4, v0                               // 000000005CAC: 20520084
	v_lshlrev_b32_e32 v41, 2, v41                              // 000000005CB0: 24525282
	v_and_b32_e32 v42, 3, v0                                   // 000000005CB4: 26540083
	v_add_u32_e32 v41, v42, v41                                // 000000005CB8: 6852532A
	v_lshlrev_b32_e32 v74, 2, v41                              // 000000005CBC: 24945282
	v_mov_b32_e32 v75, v74                                     // 000000005CC0: 7E96034A
	s_mul_i32 s60, s2, 64                                      // 000000005CC4: 923CC002
	s_add_u32 s32, s60, s32                                    // 000000005CC8: 8020203C
	s_addc_u32 s33, 0, s33                                     // 000000005CCC: 82212180
	s_add_u32 s36, s60, s36                                    // 000000005CD0: 8024243C
	s_addc_u32 s37, 0, s37                                     // 000000005CD4: 82252580
	s_mul_i32 s60, s2, s76                                     // 000000005CD8: 923C4C02
	s_mul_i32 s61, s84, s75                                    // 000000005CDC: 923D4B54
	s_add_u32 s60, s60, s61                                    // 000000005CE0: 803C3D3C
	s_add_u32 s8, s60, s8                                      // 000000005CE4: 8008083C
	s_addc_u32 s9, 0, s9                                       // 000000005CE8: 82090980
	s_mov_b32 s70, 0                                           // 000000005CEC: BEC60080
	s_and_b32 s71, s72, 0xffffff00                             // 000000005CF0: 8647FF48 FFFFFF00
	s_mov_b32 s42, 0xff00ff00                                  // 000000005CF8: BEAA00FF FF00FF00
	s_mov_b32 s43, 0xff00ff00                                  // 000000005D00: BEAB00FF FF00FF00
	s_mov_b32 s44, 0xf0f0f0f0                                  // 000000005D08: BEAC00FF F0F0F0F0
	s_mov_b32 s45, 0xf0f0f0f0                                  // 000000005D10: BEAD00FF F0F0F0F0
	s_mov_b32 s78, 0xff00ff                                    // 000000005D18: BECE00FF 00FF00FF
	s_mov_b32 s79, 0xff00ff                                    // 000000005D20: BECF00FF 00FF00FF
	v_mul_i32_i24_e64 v78, 64, s66                             // 000000005D28: D106004E 000084C0
	v_mov_b32_e32 v68, s68                                     // 000000005D30: 7E880244
	s_mov_b32 s52, 0x7060302                                   // 000000005D34: BEB400FF 07060302
	s_mov_b32 s53, 0x400                                       // 000000005D3C: BEB500FF 00000400
	s_mov_b32 s54, 0x40100                                     // 000000005D44: BEB600FF 00040100
	s_mov_b32 s55, 0x4020100                                   // 000000005D4C: BEB700FF 04020100
	s_mov_b32 s6, 0x3fb8aa3b                                   // 000000005D54: BE8600FF 3FB8AA3B
	v_mov_b32_e32 v14, 0xff800000                              // 000000005D5C: 7E1C02FF FF800000
	v_mov_b32_e32 v63, 0                                       // 000000005D64: 7E7E0280
	v_mov_b32_e32 v47, 0                                       // 000000005D68: 7E5E0280
	v_mov_b32_e32 v58, 0                                       // 000000005D6C: 7E740280
	v_mov_b32_e32 v22, 0xffff0000                              // 000000005D70: 7E2C02FF FFFF0000
	v_mov_b32_e32 v23, 0x7fff0000                              // 000000005D78: 7E2E02FF 7FFF0000
	v_mov_b32_e32 v24, 0x7fff                                  // 000000005D80: 7E3002FF 00007FFF
	v_add_u32_e32 v1, s56, v1                                  // 000000005D88: 68020238
	v_and_b32_e32 v10, 15, v0                                  // 000000005D8C: 2614008F
	v_lshlrev_b32_e32 v10, 2, v10                              // 000000005D90: 24141482
	v_lshlrev_b32_e32 v11, 2, v0                               // 000000005D94: 24160082
	s_mul_i32 s60, 0x100, s7                                   // 000000005D98: 923C07FF 00000100
	v_add_u32_e32 v11, s60, v11                                // 000000005DA0: 6816163C
	v_lshrrev_b32_e32 v41, 4, v0                               // 000000005DA4: 20520084
	v_lshlrev_b32_e32 v42, 6, v41                              // 000000005DA8: 24545286
	v_and_b32_e32 v41, 15, v0                                  // 000000005DAC: 2652008F
	v_lshlrev_b32_e32 v41, 1, v41                              // 000000005DB0: 24525281
	v_add_u32_e32 v42, v41, v42                                // 000000005DB4: 68545529
	v_lshlrev_b32_e32 v12, 2, v42                              // 000000005DB8: 24185482
	v_lshrrev_b32_e32 v41, 5, v0                               // 000000005DBC: 20520085
	v_lshlrev_b32_e32 v42, 5, v41                              // 000000005DC0: 24545285
	v_and_b32_e32 v41, 31, v0                                  // 000000005DC4: 2652009F
	v_lshrrev_b32_e32 v43, 4, v41                              // 000000005DC8: 20565284
	v_add_u32_e32 v42, v43, v42                                // 000000005DCC: 6854552B
	v_and_b32_e32 v41, 15, v0                                  // 000000005DD0: 2652008F
	v_lshlrev_b32_e32 v41, 1, v41                              // 000000005DD4: 24525281
	v_add_u32_e32 v42, v41, v42                                // 000000005DD8: 68545529
	v_lshlrev_b32_e32 v41, 2, v42                              // 000000005DDC: 24525482
	s_mul_i32 s60, 0x100, s7                                   // 000000005DE0: 923C07FF 00000100
	v_add_u32_e64 v13, v41, s60                                // 000000005DE8: D134000D 00007929
	v_lshlrev_b32_e32 v6, 4, v0                                // 000000005DF0: 240C0084
	s_mul_i32 s60, s2, s69                                     // 000000005DF4: 923C4502
	s_add_u32 s16, s60, s16                                    // 000000005DF8: 8010103C
	s_addc_u32 s17, 0, s17                                     // 000000005DFC: 82111180
	v_and_b32_e32 v41, 15, v0                                  // 000000005E00: 2652008F
	v_lshlrev_b32_e32 v7, 4, v41                               // 000000005E04: 240E5284
	s_mul_i32 s61, s2, s69                                     // 000000005E08: 923D4502
	s_mul_i32 s60, s7, 0x100                                   // 000000005E0C: 923CFF07 00000100
	s_add_u32 s60, s60, s61                                    // 000000005E14: 803C3D3C
	s_add_u32 s20, s60, s20                                    // 000000005E18: 8014143C
	s_addc_u32 s21, 0, s21                                     // 000000005E1C: 82151580
	s_waitcnt vmcnt(4)                                         // 000000005E20: BF8C0F74
	v_mul_u32_u24_dpp v41, v19, v68 row_newbcast:0 row_mask:0xf bank_mask:0xf// 000000005E24: 105288FA FF015013
	v_mul_u32_u24_dpp v42, v19, v68 row_newbcast:4 row_mask:0xf bank_mask:0xf// 000000005E2C: 105488FA FF015413
	v_mul_u32_u24_dpp v43, v19, v68 row_newbcast:8 row_mask:0xf bank_mask:0xf// 000000005E34: 105688FA FF015813
	v_mul_u32_u24_dpp v44, v19, v68 row_newbcast:12 row_mask:0xf bank_mask:0xf// 000000005E3C: 105888FA FF015C13
	v_add_u32_e32 v25, v41, v6                                 // 000000005E44: 68320D29
	v_add_u32_e32 v26, v42, v6                                 // 000000005E48: 68340D2A
	v_add_u32_e32 v27, v43, v6                                 // 000000005E4C: 68360D2B
	v_add_u32_e32 v28, v44, v6                                 // 000000005E50: 68380D2C
	v_mul_u32_u24_dpp v41, v19, v68 row_newbcast:1 row_mask:0xf bank_mask:0xf// 000000005E54: 105288FA FF015113
	v_mul_u32_u24_dpp v42, v19, v68 row_newbcast:5 row_mask:0xf bank_mask:0xf// 000000005E5C: 105488FA FF015513
	v_mul_u32_u24_dpp v43, v19, v68 row_newbcast:9 row_mask:0xf bank_mask:0xf// 000000005E64: 105688FA FF015913
	v_mul_u32_u24_dpp v44, v19, v68 row_newbcast:13 row_mask:0xf bank_mask:0xf// 000000005E6C: 105888FA FF015D13
	v_add_u32_e32 v33, v41, v7                                 // 000000005E74: 68420F29
	v_add_u32_e32 v34, v42, v7                                 // 000000005E78: 68440F2A
	v_add_u32_e32 v35, v43, v7                                 // 000000005E7C: 68460F2B
	v_add_u32_e32 v36, v44, v7                                 // 000000005E80: 68480F2C
	v_mul_u32_u24_dpp v41, v19, v78 quad_perm:[0,0,0,0] row_mask:0xf bank_mask:0xf// 000000005E84: 10529CFA FF000013
	v_add_u32_e32 v2, v41, v74                                 // 000000005E8C: 68049529
	v_mul_u32_u24_dpp v41, v19, v78 quad_perm:[0,0,0,0] row_mask:0xf bank_mask:0xf// 000000005E90: 10529CFA FF000013
	v_add_u32_e32 v70, v41, v75                                // 000000005E98: 688C9729
	buffer_load_dword v52, v2, s[32:35], 0 offen               // 000000005E9C: E0501000 80083402
	buffer_load_dwordx4 a[0:3], v25, s[16:19], 0 offen         // 000000005EA4: E05C1000 80840019
	buffer_load_dwordx4 a[4:7], v25, s[16:19], 0 offen offset:1024// 000000005EAC: E05C1400 80840419
	buffer_load_dwordx4 a[8:11], v26, s[16:19], 0 offen        // 000000005EB4: E05C1000 8084081A
	buffer_load_dwordx4 a[12:15], v26, s[16:19], 0 offen offset:1024// 000000005EBC: E05C1400 80840C1A
	buffer_load_dwordx4 a[16:19], v27, s[16:19], 0 offen       // 000000005EC4: E05C1000 8084101B
	buffer_load_dwordx4 a[20:23], v27, s[16:19], 0 offen offset:1024// 000000005ECC: E05C1400 8084141B
	buffer_load_dwordx4 a[24:27], v28, s[16:19], 0 offen       // 000000005ED4: E05C1000 8084181C
	buffer_load_dwordx4 a[28:31], v28, s[16:19], 0 offen offset:1024// 000000005EDC: E05C1400 80841C1C
	buffer_load_dword v72, v70, s[36:39], 0 offen              // 000000005EE4: E0501000 80094846
	buffer_load_dwordx4 a[64:67], v33, s[20:23], 0 offen       // 000000005EEC: E05C1000 80854021
	buffer_load_dwordx4 a[68:71], v34, s[20:23], 0 offen       // 000000005EF4: E05C1000 80854422
	buffer_load_dwordx4 a[72:75], v35, s[20:23], 0 offen       // 000000005EFC: E05C1000 80854823
	buffer_load_dwordx4 a[76:79], v36, s[20:23], 0 offen       // 000000005F04: E05C1000 80854C24
	buffer_load_dwordx4 a[80:83], v33, s[20:23], 0 offen offset:1024// 000000005F0C: E05C1400 80855021
	buffer_load_dwordx4 a[84:87], v34, s[20:23], 0 offen offset:1024// 000000005F14: E05C1400 80855422
	buffer_load_dwordx4 a[88:91], v35, s[20:23], 0 offen offset:1024// 000000005F1C: E05C1400 80855823
	buffer_load_dwordx4 a[92:95], v36, s[20:23], 0 offen offset:1024// 000000005F24: E05C1400 80855C24
	v_lshrrev_b32_e32 v41, 4, v0                               // 000000005F2C: 20520084
	v_lshlrev_b32_e32 v42, 1, v41                              // 000000005F30: 24545281
	v_and_b32_e32 v41, 15, v0                                  // 000000005F34: 2652008F
	v_mul_i32_i24_e32 v41, 0x42, v41                           // 000000005F38: 0C5252FF 00000042
	v_add_u32_e32 v42, v41, v42                                // 000000005F40: 68545529
	v_lshlrev_b32_e32 v4, 2, v42                               // 000000005F44: 24085482
	s_mul_i32 s60, s7, 32                                      // 000000005F48: 923CA007
	v_add_u32_e32 v4, s60, v4                                  // 000000005F4C: 6808083C
	s_waitcnt vmcnt(16) lgkmcnt(0)                             // 000000005F50: BF8C4070
	s_barrier                                                  // 000000005F54: BF8A0000
	ds_read_b64 v[96:97], v4                                   // 000000005F58: D8EC0000 60000004
	ds_read_b64 v[100:101], v4 offset:128                      // 000000005F60: D8EC0080 64000004
	s_waitcnt lgkmcnt(0)                                       // 000000005F68: BF8CC07F
	v_and_b32_e32 v41, 0xffff, v96                             // 000000005F6C: 2652C0FF 0000FFFF
	v_lshrrev_b32_e32 v42, 16, v96                             // 000000005F74: 2054C090
	v_and_b32_e32 v43, 0xffff, v97                             // 000000005F78: 2656C2FF 0000FFFF
	v_lshrrev_b32_e32 v44, 16, v97                             // 000000005F80: 2058C290
	v_cvt_f32_f16_e32 v96, v41                                 // 000000005F84: 7EC01729
	v_cvt_f32_f16_e32 v97, v42                                 // 000000005F88: 7EC2172A
	v_cvt_f32_f16_e32 v98, v43                                 // 000000005F8C: 7EC4172B
	v_cvt_f32_f16_e32 v99, v44                                 // 000000005F90: 7EC6172C
	v_and_b32_e32 v41, 0xffff, v100                            // 000000005F94: 2652C8FF 0000FFFF
	v_lshrrev_b32_e32 v42, 16, v100                            // 000000005F9C: 2054C890
	v_and_b32_e32 v43, 0xffff, v101                            // 000000005FA0: 2656CAFF 0000FFFF
	v_lshrrev_b32_e32 v44, 16, v101                            // 000000005FA8: 2058CA90
	v_cvt_f32_f16_e32 v100, v41                                // 000000005FAC: 7EC81729
	v_cvt_f32_f16_e32 v101, v42                                // 000000005FB0: 7ECA172A
	v_cvt_f32_f16_e32 v102, v43                                // 000000005FB4: 7ECC172B
	v_cvt_f32_f16_e32 v103, v44                                // 000000005FB8: 7ECE172C
	v_mov_b32_e32 v62, 0x358637bd                              // 000000005FBC: 7E7C02FF 358637BD
	v_max3_f32 v62, |v96|, |v97|, v62                          // 000000005FC4: D1D3033E 04FAC360
	v_max3_f32 v62, |v98|, |v99|, v62                          // 000000005FCC: D1D3033E 04FAC762
	v_max3_f32 v62, |v100|, |v101|, v62                        // 000000005FD4: D1D3033E 04FACB64
	v_max3_f32 v62, |v102|, |v103|, v62                        // 000000005FDC: D1D3033E 04FACF66
	ds_write_b32 v11, v62 offset:16896                         // 000000005FE4: D81A4200 00003E0B
	s_waitcnt lgkmcnt(0)                                       // 000000005FEC: BF8CC07F
	s_barrier                                                  // 000000005FF0: BF8A0000
	ds_read_b32 v80, v10 offset:16896                          // 000000005FF4: D86C4200 5000000A
	ds_read_b32 v81, v10 offset:16960                          // 000000005FFC: D86C4240 5100000A
	ds_read_b32 v82, v10 offset:17024                          // 000000006004: D86C4280 5200000A
	ds_read_b32 v83, v10 offset:17088                          // 00000000600C: D86C42C0 5300000A
	ds_read_b32 v84, v10 offset:17152                          // 000000006014: D86C4300 5400000A
	ds_read_b32 v85, v10 offset:17216                          // 00000000601C: D86C4340 5500000A
	ds_read_b32 v86, v10 offset:17280                          // 000000006024: D86C4380 5600000A
	ds_read_b32 v87, v10 offset:17344                          // 00000000602C: D86C43C0 5700000A
	ds_read_b32 v88, v10 offset:17408                          // 000000006034: D86C4400 5800000A
	ds_read_b32 v89, v10 offset:17472                          // 00000000603C: D86C4440 5900000A
	ds_read_b32 v90, v10 offset:17536                          // 000000006044: D86C4480 5A00000A
	ds_read_b32 v91, v10 offset:17600                          // 00000000604C: D86C44C0 5B00000A
	ds_read_b32 v92, v10 offset:17664                          // 000000006054: D86C4500 5C00000A
	ds_read_b32 v93, v10 offset:17728                          // 00000000605C: D86C4540 5D00000A
	ds_read_b32 v94, v10 offset:17792                          // 000000006064: D86C4580 5E00000A
	ds_read_b32 v95, v10 offset:17856                          // 00000000606C: D86C45C0 5F00000A
	s_waitcnt lgkmcnt(0)                                       // 000000006074: BF8CC07F
	v_max3_f32 v62, |v80|, |v81|, v62                          // 000000006078: D1D3033E 04FAA350
	v_max3_f32 v62, |v82|, |v83|, v62                          // 000000006080: D1D3033E 04FAA752
	v_max3_f32 v62, |v84|, |v85|, v62                          // 000000006088: D1D3033E 04FAAB54
	v_max3_f32 v62, |v86|, |v87|, v62                          // 000000006090: D1D3033E 04FAAF56
	v_max3_f32 v62, |v88|, |v89|, v62                          // 000000006098: D1D3033E 04FAB358
	v_max3_f32 v62, |v90|, |v91|, v62                          // 0000000060A0: D1D3033E 04FAB75A
	v_max3_f32 v62, |v92|, |v93|, v62                          // 0000000060A8: D1D3033E 04FABB5C
	v_max3_f32 v62, |v94|, |v95|, v62                          // 0000000060B0: D1D3033E 04FABF5E
	v_rcp_f32_e32 v62, v62                                     // 0000000060B8: 7E7C453E
	s_nop 1                                                    // 0000000060BC: BF800001
	v_mul_f32_e32 v62, 0x42fe0000, v62                         // 0000000060C0: 0A7C7CFF 42FE0000
	v_mul_f32_e32 v96, v62, v96                                // 0000000060C8: 0AC0C13E
	v_mul_f32_e32 v97, v62, v97                                // 0000000060CC: 0AC2C33E
	v_mul_f32_e32 v98, v62, v98                                // 0000000060D0: 0AC4C53E
	v_mul_f32_e32 v99, v62, v99                                // 0000000060D4: 0AC6C73E
	v_mul_f32_e32 v100, v62, v100                              // 0000000060D8: 0AC8C93E
	v_mul_f32_e32 v101, v62, v101                              // 0000000060DC: 0ACACB3E
	v_mul_f32_e32 v102, v62, v102                              // 0000000060E0: 0ACCCD3E
	v_mul_f32_e32 v103, v62, v103                              // 0000000060E4: 0ACECF3E
	v_cvt_i32_f32_e32 v96, v96                                 // 0000000060E8: 7EC01160
	v_cvt_i32_f32_e32 v97, v97                                 // 0000000060EC: 7EC21161
	v_cvt_i32_f32_e32 v98, v98                                 // 0000000060F0: 7EC41162
	v_cvt_i32_f32_e32 v99, v99                                 // 0000000060F4: 7EC61163
	v_cvt_i32_f32_e32 v100, v100                               // 0000000060F8: 7EC81164
	v_cvt_i32_f32_e32 v101, v101                               // 0000000060FC: 7ECA1165
	v_cvt_i32_f32_e32 v102, v102                               // 000000006100: 7ECC1166
	v_cvt_i32_f32_e32 v103, v103                               // 000000006104: 7ECE1167
	v_rcp_f32_e32 v54, v62                                     // 000000006108: 7E6C453E
	v_perm_b32 v96, v97, v96, s53                              // 00000000610C: D1ED0060 00D6C161
	v_perm_b32 v96, v98, v96, s54                              // 000000006114: D1ED0060 00DAC162
	v_perm_b32 v96, v99, v96, s55                              // 00000000611C: D1ED0060 00DEC163
	v_perm_b32 v97, v101, v100, s53                            // 000000006124: D1ED0061 00D6C965
	v_perm_b32 v97, v102, v97, s54                             // 00000000612C: D1ED0061 00DAC366
	v_perm_b32 v97, v103, v97, s55                             // 000000006134: D1ED0061 00DEC367
	ds_write_b32 v13, v96 offset:25088                         // 00000000613C: D81A6200 0000600D
	ds_write_b32 v13, v97 offset:26112                         // 000000006144: D81A6600 0000610D
	s_waitcnt lgkmcnt(0)                                       // 00000000614C: BF8CC07F
	s_barrier                                                  // 000000006150: BF8A0000
	ds_read_b64 v[96:97], v12 offset:25088                     // 000000006154: D8EC6200 6000000C
	ds_read_b64 v[98:99], v12 offset:25216                     // 00000000615C: D8EC6280 6200000C
	ds_read_b64 v[100:101], v12 offset:26112                   // 000000006164: D8EC6600 6400000C
	ds_read_b64 v[102:103], v12 offset:26240                   // 00000000616C: D8EC6680 6600000C
	v_mov_b32_e32 v224, 0                                      // 000000006174: 7FC00280
	v_mov_b32_e32 v225, 0                                      // 000000006178: 7FC20280
	v_mov_b32_e32 v226, 0                                      // 00000000617C: 7FC40280
	v_mov_b32_e32 v227, 0                                      // 000000006180: 7FC60280
	v_mov_b32_e32 v228, 0                                      // 000000006184: 7FC80280
	v_mov_b32_e32 v229, 0                                      // 000000006188: 7FCA0280
	v_mov_b32_e32 v230, 0                                      // 00000000618C: 7FCC0280
	v_mov_b32_e32 v231, 0                                      // 000000006190: 7FCE0280
	v_mov_b32_e32 v192, 0                                      // 000000006194: 7F800280
	v_mov_b32_e32 v193, 0                                      // 000000006198: 7F820280
	v_mov_b32_e32 v194, 0                                      // 00000000619C: 7F840280
	v_mov_b32_e32 v195, 0                                      // 0000000061A0: 7F860280
	v_mov_b32_e32 v196, 0                                      // 0000000061A4: 7F880280
	v_mov_b32_e32 v197, 0                                      // 0000000061A8: 7F8A0280
	v_mov_b32_e32 v198, 0                                      // 0000000061AC: 7F8C0280
	v_mov_b32_e32 v199, 0                                      // 0000000061B0: 7F8E0280
	s_waitcnt vmcnt(8) lgkmcnt(0)                              // 0000000061B4: BF8C0078
	s_barrier                                                  // 0000000061B8: BF8A0000
	s_cmp_lt_u32 s73, 16                                       // 0000000061BC: BF0A9049
	s_cbranch_scc1 label_19F0                                  // 0000000061C0: BF8509FF
	s_cmp_lt_i32 s7, 2                                         // 0000000061C4: BF048207
	s_cbranch_scc0 label_14F3                                  // 0000000061C8: BF840500

00000000000061cc <label_0FF3>:
	s_waitcnt vmcnt(8) lgkmcnt(0)                              // 0000000061CC: BF8C0078
	v_mul_u32_u24_dpp v41, v20, v68 row_newbcast:0 row_mask:0xf bank_mask:0xf// 0000000061D0: 105288FA FF015014
	v_mul_u32_u24_dpp v42, v20, v68 row_newbcast:4 row_mask:0xf bank_mask:0xf// 0000000061D8: 105488FA FF015414
	v_mul_u32_u24_dpp v43, v20, v68 row_newbcast:8 row_mask:0xf bank_mask:0xf// 0000000061E0: 105688FA FF015814
	v_mul_u32_u24_dpp v44, v20, v68 row_newbcast:12 row_mask:0xf bank_mask:0xf// 0000000061E8: 105888FA FF015C14
	v_add_u32_e32 v29, v41, v6                                 // 0000000061F0: 683A0D29
	v_add_u32_e32 v30, v42, v6                                 // 0000000061F4: 683C0D2A
	v_add_u32_e32 v31, v43, v6                                 // 0000000061F8: 683E0D2B
	v_add_u32_e32 v32, v44, v6                                 // 0000000061FC: 68400D2C
	v_mul_u32_u24_dpp v41, v20, v78 quad_perm:[0,0,0,0] row_mask:0xf bank_mask:0xf// 000000006200: 10529CFA FF000014
	v_add_u32_e32 v3, v41, v74                                 // 000000006208: 68069529
	v_mul_u32_u24_dpp v41, v20, v78 quad_perm:[0,0,0,0] row_mask:0xf bank_mask:0xf// 00000000620C: 10529CFA FF000014
	v_add_u32_e32 v71, v41, v75                                // 000000006214: 688E9729
	v_mfma_i32_16x16x32_i8 v[128:131], a[0:1], v[96:97], 0     // 000000006218: D3D70080 0A02C100
	v_mfma_i32_16x16x32_i8 v[128:131], a[2:3], v[98:99], v[128:131]// 000000006220: D3D70080 0E02C502
	buffer_load_dwordx4 a[32:35], v29, s[16:19], 0 offen       // 000000006228: E05C1000 8084201D
	v_mfma_i32_16x16x32_i8 v[128:131], a[4:5], v[100:101], v[128:131]// 000000006230: D3D70080 0E02C904
	v_mfma_i32_16x16x32_i8 v[128:131], a[6:7], v[102:103], v[128:131]// 000000006238: D3D70080 0E02CD06
	buffer_load_dword v19, v1, s[24:27], 0 offen               // 000000006240: E0501000 80061301
	v_mfma_i32_16x16x32_i8 v[132:135], a[8:9], v[96:97], 0     // 000000006248: D3D70084 0A02C108
	v_mfma_i32_16x16x32_i8 v[132:135], a[10:11], v[98:99], v[132:135]// 000000006250: D3D70084 0E12C50A
	buffer_load_dwordx4 a[36:39], v29, s[16:19], 0 offen offset:1024// 000000006258: E05C1400 8084241D
	v_mfma_i32_16x16x32_i8 v[132:135], a[12:13], v[100:101], v[132:135]// 000000006260: D3D70084 0E12C90C
	v_mfma_i32_16x16x32_i8 v[132:135], a[14:15], v[102:103], v[132:135]// 000000006268: D3D70084 0E12CD0E
	v_mfma_i32_16x16x32_i8 v[136:139], a[16:17], v[96:97], 0   // 000000006270: D3D70088 0A02C110
	v_mfma_i32_16x16x32_i8 v[136:139], a[18:19], v[98:99], v[136:139]// 000000006278: D3D70088 0E22C512
	buffer_load_dwordx4 a[40:43], v30, s[16:19], 0 offen       // 000000006280: E05C1000 8084281E
	v_mfma_i32_16x16x32_i8 v[136:139], a[20:21], v[100:101], v[136:139]// 000000006288: D3D70088 0E22C914
	v_mfma_i32_16x16x32_i8 v[136:139], a[22:23], v[102:103], v[136:139]// 000000006290: D3D70088 0E22CD16
	v_mfma_i32_16x16x32_i8 v[140:143], a[24:25], v[96:97], 0   // 000000006298: D3D7008C 0A02C118
	v_mfma_i32_16x16x32_i8 v[140:143], a[26:27], v[98:99], v[140:143]// 0000000062A0: D3D7008C 0E32C51A
	buffer_load_dwordx4 a[44:47], v30, s[16:19], 0 offen offset:1024// 0000000062A8: E05C1400 80842C1E
	v_mfma_i32_16x16x32_i8 v[140:143], a[28:29], v[100:101], v[140:143]// 0000000062B0: D3D7008C 0E32C91C
	v_mfma_i32_16x16x32_i8 v[140:143], a[30:31], v[102:103], v[140:143]// 0000000062B8: D3D7008C 0E32CD1E
	buffer_load_dword v53, v3, s[32:35], 0 offen               // 0000000062C0: E0501000 80083503
	v_mov_b32_dpp v41, v52 row_shr:4 row_mask:0xf bank_mask:0xf// 0000000062C8: 7E5202FA FF011434
	v_mov_b32_dpp v42, v52 row_shl:4 row_mask:0xf bank_mask:0xf// 0000000062D0: 7E5402FA FF010434
	v_cndmask_b32_e64 v248, v52, v41, s[44:45]                 // 0000000062D8: D10000F8 00B25334
	v_cndmask_b32_e64 v249, v42, v52, s[44:45]                 // 0000000062E0: D10000F9 00B2692A
	v_mov_b32_dpp v41, v248 row_shr:8 row_mask:0xf bank_mask:0xf// 0000000062E8: 7E5202FA FF0118F8
	v_mov_b32_dpp v42, v248 row_shl:8 row_mask:0xf bank_mask:0xf// 0000000062F0: 7E5402FA FF0108F8
	v_mov_b32_dpp v43, v249 row_shr:8 row_mask:0xf bank_mask:0xf// 0000000062F8: 7E5602FA FF0118F9
	v_mov_b32_dpp v44, v249 row_shl:8 row_mask:0xf bank_mask:0xf// 000000006300: 7E5802FA FF0108F9
	v_mov_b32_e32 v45, v248                                    // 000000006308: 7E5A03F8
	v_mov_b32_e32 v46, v249                                    // 00000000630C: 7E5C03F9
	v_cndmask_b32_e64 v248, v45, v41, s[42:43]                 // 000000006310: D10000F8 00AA532D
	v_cndmask_b32_e64 v250, v45, v42, s[78:79]                 // 000000006318: D10000FA 013A552D
	v_cndmask_b32_e64 v249, v46, v43, s[42:43]                 // 000000006320: D10000F9 00AA572E
	v_cndmask_b32_e64 v251, v46, v44, s[78:79]                 // 000000006328: D10000FB 013A592E
	v_mov_b32_dpp v41, v72 row_shr:4 row_mask:0xf bank_mask:0xf// 000000006330: 7E5202FA FF011448
	v_mov_b32_dpp v42, v72 row_shl:4 row_mask:0xf bank_mask:0xf// 000000006338: 7E5402FA FF010448
	v_cndmask_b32_e64 v252, v72, v41, s[44:45]                 // 000000006340: D10000FC 00B25348
	v_cndmask_b32_e64 v253, v42, v72, s[44:45]                 // 000000006348: D10000FD 00B2912A
	v_mov_b32_dpp v41, v252 row_shr:8 row_mask:0xf bank_mask:0xf// 000000006350: 7E5202FA FF0118FC
	v_mov_b32_dpp v42, v252 row_shl:8 row_mask:0xf bank_mask:0xf// 000000006358: 7E5402FA FF0108FC
	v_mov_b32_dpp v43, v253 row_shr:8 row_mask:0xf bank_mask:0xf// 000000006360: 7E5602FA FF0118FD
	v_mov_b32_dpp v44, v253 row_shl:8 row_mask:0xf bank_mask:0xf// 000000006368: 7E5802FA FF0108FD
	v_mov_b32_e32 v45, v252                                    // 000000006370: 7E5A03FC
	v_mov_b32_e32 v46, v253                                    // 000000006374: 7E5C03FD
	v_cndmask_b32_e64 v252, v45, v41, s[42:43]                 // 000000006378: D10000FC 00AA532D
	v_cndmask_b32_e64 v254, v45, v42, s[78:79]                 // 000000006380: D10000FE 013A552D
	v_cndmask_b32_e64 v253, v46, v43, s[42:43]                 // 000000006388: D10000FD 00AA572E
	v_cndmask_b32_e64 v255, v46, v44, s[78:79]                 // 000000006390: D10000FF 013A592E
	buffer_load_dword v73, v71, s[36:39], 0 offen              // 000000006398: E0501000 80094947
	v_cvt_f32_i32_e32 v128, v128                               // 0000000063A0: 7F000B80
	v_cvt_f32_i32_e32 v129, v129                               // 0000000063A4: 7F020B81
	v_cvt_f32_i32_e32 v130, v130                               // 0000000063A8: 7F040B82
	v_cvt_f32_i32_e32 v131, v131                               // 0000000063AC: 7F060B83
	v_cvt_f32_i32_e32 v132, v132                               // 0000000063B0: 7F080B84
	v_cvt_f32_i32_e32 v133, v133                               // 0000000063B4: 7F0A0B85
	v_cvt_f32_i32_e32 v134, v134                               // 0000000063B8: 7F0C0B86
	v_cvt_f32_i32_e32 v135, v135                               // 0000000063BC: 7F0E0B87
	v_cvt_f32_i32_e32 v136, v136                               // 0000000063C0: 7F100B88
	v_cvt_f32_i32_e32 v137, v137                               // 0000000063C4: 7F120B89
	v_cvt_f32_i32_e32 v138, v138                               // 0000000063C8: 7F140B8A
	v_cvt_f32_i32_e32 v139, v139                               // 0000000063CC: 7F160B8B
	v_cvt_f32_i32_e32 v140, v140                               // 0000000063D0: 7F180B8C
	v_cvt_f32_i32_e32 v141, v141                               // 0000000063D4: 7F1A0B8D
	v_cvt_f32_i32_e32 v142, v142                               // 0000000063D8: 7F1C0B8E
	v_cvt_f32_i32_e32 v143, v143                               // 0000000063DC: 7F1E0B8F
	v_mul_f32_e32 v128, v54, v128                              // 0000000063E0: 0B010136
	v_mul_f32_e32 v129, v54, v129                              // 0000000063E4: 0B030336
	v_mul_f32_e32 v130, v54, v130                              // 0000000063E8: 0B050536
	v_mul_f32_e32 v131, v54, v131                              // 0000000063EC: 0B070736
	v_mul_f32_e32 v132, v54, v132                              // 0000000063F0: 0B090936
	v_mul_f32_e32 v133, v54, v133                              // 0000000063F4: 0B0B0B36
	v_mul_f32_e32 v134, v54, v134                              // 0000000063F8: 0B0D0D36
	v_mul_f32_e32 v135, v54, v135                              // 0000000063FC: 0B0F0F36
	v_mul_f32_e32 v136, v54, v136                              // 000000006400: 0B111136
	v_mul_f32_e32 v137, v54, v137                              // 000000006404: 0B131336
	v_mul_f32_e32 v138, v54, v138                              // 000000006408: 0B151536
	v_mul_f32_e32 v139, v54, v139                              // 00000000640C: 0B171736
	v_mul_f32_e32 v140, v54, v140                              // 000000006410: 0B191936
	v_mul_f32_e32 v141, v54, v141                              // 000000006414: 0B1B1B36
	v_mul_f32_e32 v142, v54, v142                              // 000000006418: 0B1D1D36
	v_mul_f32_e32 v143, v54, v143                              // 00000000641C: 0B1F1F36
	buffer_load_dwordx4 a[48:51], v31, s[16:19], 0 offen       // 000000006420: E05C1000 8084301F
	v_mul_f32_dpp v128, v248, v128 quad_perm:[0,0,0,0] row_mask:0xf bank_mask:0xf// 000000006428: 0B0100FA FF0000F8
	v_mul_f32_dpp v129, v248, v129 quad_perm:[1,1,1,1] row_mask:0xf bank_mask:0xf// 000000006430: 0B0302FA FF0055F8
	v_mul_f32_dpp v130, v248, v130 quad_perm:[2,2,2,2] row_mask:0xf bank_mask:0xf// 000000006438: 0B0504FA FF00AAF8
	v_mul_f32_dpp v131, v248, v131 quad_perm:[3,3,3,3] row_mask:0xf bank_mask:0xf// 000000006440: 0B0706FA FF00FFF8
	v_mul_f32_dpp v132, v249, v132 quad_perm:[0,0,0,0] row_mask:0xf bank_mask:0xf// 000000006448: 0B0908FA FF0000F9
	v_mul_f32_dpp v133, v249, v133 quad_perm:[1,1,1,1] row_mask:0xf bank_mask:0xf// 000000006450: 0B0B0AFA FF0055F9
	v_mul_f32_dpp v134, v249, v134 quad_perm:[2,2,2,2] row_mask:0xf bank_mask:0xf// 000000006458: 0B0D0CFA FF00AAF9
	v_mul_f32_dpp v135, v249, v135 quad_perm:[3,3,3,3] row_mask:0xf bank_mask:0xf// 000000006460: 0B0F0EFA FF00FFF9
	v_mul_f32_dpp v136, v250, v136 quad_perm:[0,0,0,0] row_mask:0xf bank_mask:0xf// 000000006468: 0B1110FA FF0000FA
	v_mul_f32_dpp v137, v250, v137 quad_perm:[1,1,1,1] row_mask:0xf bank_mask:0xf// 000000006470: 0B1312FA FF0055FA
	v_mul_f32_dpp v138, v250, v138 quad_perm:[2,2,2,2] row_mask:0xf bank_mask:0xf// 000000006478: 0B1514FA FF00AAFA
	v_mul_f32_dpp v139, v250, v139 quad_perm:[3,3,3,3] row_mask:0xf bank_mask:0xf// 000000006480: 0B1716FA FF00FFFA
	v_mul_f32_dpp v140, v251, v140 quad_perm:[0,0,0,0] row_mask:0xf bank_mask:0xf// 000000006488: 0B1918FA FF0000FB
	v_mul_f32_dpp v141, v251, v141 quad_perm:[1,1,1,1] row_mask:0xf bank_mask:0xf// 000000006490: 0B1B1AFA FF0055FB
	v_mul_f32_dpp v142, v251, v142 quad_perm:[2,2,2,2] row_mask:0xf bank_mask:0xf// 000000006498: 0B1D1CFA FF00AAFB
	v_mul_f32_dpp v143, v251, v143 quad_perm:[3,3,3,3] row_mask:0xf bank_mask:0xf// 0000000064A0: 0B1F1EFA FF00FFFB
	buffer_load_dwordx4 a[52:55], v31, s[16:19], 0 offen offset:1024// 0000000064A8: E05C1400 8084341F
	v_mov_b32_e32 v62, v128                                    // 0000000064B0: 7E7C0380
	v_max3_f32 v62, v128, v129, v62                            // 0000000064B4: D1D3003E 04FB0380
	v_max3_f32 v62, v130, v131, v62                            // 0000000064BC: D1D3003E 04FB0782
	v_max3_f32 v62, v132, v133, v62                            // 0000000064C4: D1D3003E 04FB0B84
	v_max3_f32 v62, v134, v135, v62                            // 0000000064CC: D1D3003E 04FB0F86
	v_max3_f32 v62, v136, v137, v62                            // 0000000064D4: D1D3003E 04FB1388
	v_max3_f32 v62, v138, v139, v62                            // 0000000064DC: D1D3003E 04FB178A
	v_max3_f32 v62, v140, v141, v62                            // 0000000064E4: D1D3003E 04FB1B8C
	v_max3_f32 v62, v142, v143, v62                            // 0000000064EC: D1D3003E 04FB1F8E
	ds_write_b32 v11, v62 offset:16896                         // 0000000064F4: D81A4200 00003E0B
	buffer_load_dwordx4 a[56:59], v32, s[16:19], 0 offen       // 0000000064FC: E05C1000 80843820
	v_mul_u32_u24_dpp v41, v20, v68 row_newbcast:1 row_mask:0xf bank_mask:0xf// 000000006504: 105288FA FF015114
	v_mul_u32_u24_dpp v42, v20, v68 row_newbcast:5 row_mask:0xf bank_mask:0xf// 00000000650C: 105488FA FF015514
	v_mul_u32_u24_dpp v43, v20, v68 row_newbcast:9 row_mask:0xf bank_mask:0xf// 000000006514: 105688FA FF015914
	v_mul_u32_u24_dpp v44, v20, v68 row_newbcast:13 row_mask:0xf bank_mask:0xf// 00000000651C: 105888FA FF015D14
	v_add_u32_e32 v37, v41, v7                                 // 000000006524: 684A0F29
	v_add_u32_e32 v38, v42, v7                                 // 000000006528: 684C0F2A
	v_add_u32_e32 v39, v43, v7                                 // 00000000652C: 684E0F2B
	v_add_u32_e32 v40, v44, v7                                 // 000000006530: 68500F2C
	v_mul_f32_e32 v224, v63, v224                              // 000000006534: 0BC1C13F
	v_mul_f32_e32 v225, v63, v225                              // 000000006538: 0BC3C33F
	v_mul_f32_e32 v226, v63, v226                              // 00000000653C: 0BC5C53F
	v_mul_f32_e32 v227, v63, v227                              // 000000006540: 0BC7C73F
	v_mul_f32_e32 v228, v63, v228                              // 000000006544: 0BC9C93F
	v_mul_f32_e32 v229, v63, v229                              // 000000006548: 0BCBCB3F
	v_mul_f32_e32 v230, v63, v230                              // 00000000654C: 0BCDCD3F
	v_mul_f32_e32 v231, v63, v231                              // 000000006550: 0BCFCF3F
	s_waitcnt lgkmcnt(0)                                       // 000000006554: BF8CC07F
	s_barrier                                                  // 000000006558: BF8A0000
	ds_read_b32 v80, v10 offset:16896                          // 00000000655C: D86C4200 5000000A
	ds_read_b32 v81, v10 offset:16960                          // 000000006564: D86C4240 5100000A
	ds_read_b32 v82, v10 offset:17024                          // 00000000656C: D86C4280 5200000A
	ds_read_b32 v83, v10 offset:17088                          // 000000006574: D86C42C0 5300000A
	ds_read_b32 v84, v10 offset:17152                          // 00000000657C: D86C4300 5400000A
	ds_read_b32 v85, v10 offset:17216                          // 000000006584: D86C4340 5500000A
	ds_read_b32 v86, v10 offset:17280                          // 00000000658C: D86C4380 5600000A
	ds_read_b32 v87, v10 offset:17344                          // 000000006594: D86C43C0 5700000A
	ds_read_b32 v88, v10 offset:17408                          // 00000000659C: D86C4400 5800000A
	ds_read_b32 v89, v10 offset:17472                          // 0000000065A4: D86C4440 5900000A
	ds_read_b32 v90, v10 offset:17536                          // 0000000065AC: D86C4480 5A00000A
	ds_read_b32 v91, v10 offset:17600                          // 0000000065B4: D86C44C0 5B00000A
	ds_read_b32 v92, v10 offset:17664                          // 0000000065BC: D86C4500 5C00000A
	ds_read_b32 v93, v10 offset:17728                          // 0000000065C4: D86C4540 5D00000A
	ds_read_b32 v94, v10 offset:17792                          // 0000000065CC: D86C4580 5E00000A
	ds_read_b32 v95, v10 offset:17856                          // 0000000065D4: D86C45C0 5F00000A
	buffer_load_dwordx4 a[60:63], v32, s[16:19], 0 offen offset:1024// 0000000065DC: E05C1400 80843C20
	v_cvt_f32_i32_e32 v192, v192                               // 0000000065E4: 7F800BC0
	v_cvt_f32_i32_e32 v193, v193                               // 0000000065E8: 7F820BC1
	v_cvt_f32_i32_e32 v194, v194                               // 0000000065EC: 7F840BC2
	v_cvt_f32_i32_e32 v195, v195                               // 0000000065F0: 7F860BC3
	v_cvt_f32_i32_e32 v196, v196                               // 0000000065F4: 7F880BC4
	v_cvt_f32_i32_e32 v197, v197                               // 0000000065F8: 7F8A0BC5
	v_cvt_f32_i32_e32 v198, v198                               // 0000000065FC: 7F8C0BC6
	v_cvt_f32_i32_e32 v199, v199                               // 000000006600: 7F8E0BC7
	v_mul_f32_e32 v192, v58, v192                              // 000000006604: 0B81813A
	v_mul_f32_e32 v193, v58, v193                              // 000000006608: 0B83833A
	v_mul_f32_e32 v194, v58, v194                              // 00000000660C: 0B85853A
	v_mul_f32_e32 v195, v58, v195                              // 000000006610: 0B87873A
	v_mul_f32_e32 v196, v58, v196                              // 000000006614: 0B89893A
	v_mul_f32_e32 v197, v58, v197                              // 000000006618: 0B8B8B3A
	v_mul_f32_e32 v198, v58, v198                              // 00000000661C: 0B8D8D3A
	v_mul_f32_e32 v199, v58, v199                              // 000000006620: 0B8F8F3A
	s_waitcnt lgkmcnt(0)                                       // 000000006624: BF8CC07F
	v_max3_f32 v62, v80, v81, v62                              // 000000006628: D1D3003E 04FAA350
	v_max3_f32 v62, v82, v83, v62                              // 000000006630: D1D3003E 04FAA752
	v_max3_f32 v62, v84, v85, v62                              // 000000006638: D1D3003E 04FAAB54
	v_max3_f32 v62, v86, v87, v62                              // 000000006640: D1D3003E 04FAAF56
	v_max3_f32 v62, v88, v89, v62                              // 000000006648: D1D3003E 04FAB358
	v_max3_f32 v62, v90, v91, v62                              // 000000006650: D1D3003E 04FAB75A
	v_max3_f32 v62, v92, v93, v62                              // 000000006658: D1D3003E 04FABB5C
	v_max3_f32 v62, v94, v95, v62                              // 000000006660: D1D3003E 04FABF5E
	buffer_load_dwordx4 a[96:99], v37, s[20:23], 0 offen       // 000000006668: E05C1000 80856025
	v_mov_b32_e32 v41, 0xff800000                              // 000000006670: 7E5202FF FF800000
	v_cmp_eq_u32_e64 s[40:41], v41, v14                        // 000000006678: D0CA0028 00021D29
	s_nop 1                                                    // 000000006680: BF800001
	v_max_f32_e32 v18, v62, v14                                // 000000006684: 16241D3E
	v_mul_f32_e32 v67, s64, v18                                // 000000006688: 0A862440
	v_fma_f32 v128, v128, s64, -v67                            // 00000000668C: D1CB0080 850C8180
	v_fma_f32 v129, v129, s64, -v67                            // 000000006694: D1CB0081 850C8181
	v_fma_f32 v130, v130, s64, -v67                            // 00000000669C: D1CB0082 850C8182
	v_fma_f32 v131, v131, s64, -v67                            // 0000000066A4: D1CB0083 850C8183
	v_fma_f32 v132, v132, s64, -v67                            // 0000000066AC: D1CB0084 850C8184
	v_fma_f32 v133, v133, s64, -v67                            // 0000000066B4: D1CB0085 850C8185
	v_fma_f32 v134, v134, s64, -v67                            // 0000000066BC: D1CB0086 850C8186
	v_fma_f32 v135, v135, s64, -v67                            // 0000000066C4: D1CB0087 850C8187
	v_fma_f32 v136, v136, s64, -v67                            // 0000000066CC: D1CB0088 850C8188
	v_fma_f32 v137, v137, s64, -v67                            // 0000000066D4: D1CB0089 850C8189
	v_fma_f32 v138, v138, s64, -v67                            // 0000000066DC: D1CB008A 850C818A
	v_fma_f32 v139, v139, s64, -v67                            // 0000000066E4: D1CB008B 850C818B
	v_fma_f32 v140, v140, s64, -v67                            // 0000000066EC: D1CB008C 850C818C
	v_fma_f32 v141, v141, s64, -v67                            // 0000000066F4: D1CB008D 850C818D
	v_fma_f32 v142, v142, s64, -v67                            // 0000000066FC: D1CB008E 850C818E
	v_fma_f32 v143, v143, s64, -v67                            // 000000006704: D1CB008F 850C818F
	buffer_load_dwordx4 a[100:103], v38, s[20:23], 0 offen     // 00000000670C: E05C1000 80856426
	v_exp_f32_e32 v128, v128                                   // 000000006714: 7F004180
	v_exp_f32_e32 v129, v129                                   // 000000006718: 7F024181
	v_exp_f32_e32 v130, v130                                   // 00000000671C: 7F044182
	v_exp_f32_e32 v131, v131                                   // 000000006720: 7F064183
	v_exp_f32_e32 v132, v132                                   // 000000006724: 7F084184
	v_exp_f32_e32 v133, v133                                   // 000000006728: 7F0A4185
	v_exp_f32_e32 v134, v134                                   // 00000000672C: 7F0C4186
	v_exp_f32_e32 v135, v135                                   // 000000006730: 7F0E4187
	v_exp_f32_e32 v136, v136                                   // 000000006734: 7F104188
	v_exp_f32_e32 v137, v137                                   // 000000006738: 7F124189
	v_exp_f32_e32 v138, v138                                   // 00000000673C: 7F14418A
	v_exp_f32_e32 v139, v139                                   // 000000006740: 7F16418B
	v_exp_f32_e32 v140, v140                                   // 000000006744: 7F18418C
	v_exp_f32_e32 v141, v141                                   // 000000006748: 7F1A418D
	v_exp_f32_e32 v142, v142                                   // 00000000674C: 7F1C418E
	v_exp_f32_e32 v143, v143                                   // 000000006750: 7F1E418F
	buffer_load_dwordx4 a[104:107], v39, s[20:23], 0 offen     // 000000006754: E05C1000 80856827
	v_mul_f32_dpp v240, v252, v128 quad_perm:[0,0,0,0] row_mask:0xf bank_mask:0xf// 00000000675C: 0BE100FA FF0000FC
	v_mul_f32_dpp v241, v252, v129 quad_perm:[1,1,1,1] row_mask:0xf bank_mask:0xf// 000000006764: 0BE302FA FF0055FC
	v_mul_f32_dpp v242, v252, v130 quad_perm:[2,2,2,2] row_mask:0xf bank_mask:0xf// 00000000676C: 0BE504FA FF00AAFC
	v_mul_f32_dpp v243, v252, v131 quad_perm:[3,3,3,3] row_mask:0xf bank_mask:0xf// 000000006774: 0BE706FA FF00FFFC
	v_mul_f32_dpp v244, v253, v132 quad_perm:[0,0,0,0] row_mask:0xf bank_mask:0xf// 00000000677C: 0BE908FA FF0000FD
	v_mul_f32_dpp v245, v253, v133 quad_perm:[1,1,1,1] row_mask:0xf bank_mask:0xf// 000000006784: 0BEB0AFA FF0055FD
	v_mul_f32_dpp v246, v253, v134 quad_perm:[2,2,2,2] row_mask:0xf bank_mask:0xf// 00000000678C: 0BED0CFA FF00AAFD
	v_mul_f32_dpp v247, v253, v135 quad_perm:[3,3,3,3] row_mask:0xf bank_mask:0xf// 000000006794: 0BEF0EFA FF00FFFD
	v_mul_f32_dpp v248, v254, v136 quad_perm:[0,0,0,0] row_mask:0xf bank_mask:0xf// 00000000679C: 0BF110FA FF0000FE
	v_mul_f32_dpp v249, v254, v137 quad_perm:[1,1,1,1] row_mask:0xf bank_mask:0xf// 0000000067A4: 0BF312FA FF0055FE
	v_mul_f32_dpp v250, v254, v138 quad_perm:[2,2,2,2] row_mask:0xf bank_mask:0xf// 0000000067AC: 0BF514FA FF00AAFE
	v_mul_f32_dpp v251, v254, v139 quad_perm:[3,3,3,3] row_mask:0xf bank_mask:0xf// 0000000067B4: 0BF716FA FF00FFFE
	v_mul_f32_dpp v252, v255, v140 quad_perm:[0,0,0,0] row_mask:0xf bank_mask:0xf// 0000000067BC: 0BF918FA FF0000FF
	v_mul_f32_dpp v253, v255, v141 quad_perm:[1,1,1,1] row_mask:0xf bank_mask:0xf// 0000000067C4: 0BFB1AFA FF0055FF
	v_mul_f32_dpp v254, v255, v142 quad_perm:[2,2,2,2] row_mask:0xf bank_mask:0xf// 0000000067CC: 0BFD1CFA FF00AAFF
	v_mul_f32_dpp v255, v255, v143 quad_perm:[3,3,3,3] row_mask:0xf bank_mask:0xf// 0000000067D4: 0BFF1EFA FF00FFFF
	v_mov_b32_e32 v62, 0x358637bd                              // 0000000067DC: 7E7C02FF 358637BD
	v_max3_f32 v62, |v240|, |v241|, v62                        // 0000000067E4: D1D3033E 04FBE3F0
	v_max3_f32 v62, |v242|, |v243|, v62                        // 0000000067EC: D1D3033E 04FBE7F2
	v_max3_f32 v62, |v244|, |v245|, v62                        // 0000000067F4: D1D3033E 04FBEBF4
	v_max3_f32 v62, |v246|, |v247|, v62                        // 0000000067FC: D1D3033E 04FBEFF6
	v_max3_f32 v62, |v248|, |v249|, v62                        // 000000006804: D1D3033E 04FBF3F8
	v_max3_f32 v62, |v250|, |v251|, v62                        // 00000000680C: D1D3033E 04FBF7FA
	v_max3_f32 v62, |v252|, |v253|, v62                        // 000000006814: D1D3033E 04FBFBFC
	v_max3_f32 v62, |v254|, |v255|, v62                        // 00000000681C: D1D3033E 04FBFFFE
	buffer_load_dwordx4 a[108:111], v40, s[20:23], 0 offen     // 000000006824: E05C1000 80856C28
	ds_write_b32 v11, v62 offset:20992                         // 00000000682C: D81A5200 00003E0B
	v_sub_f32_e32 v63, v14, v18                                // 000000006834: 047E250E
	v_cndmask_b32_e64 v63, v63, 0, s[40:41]                    // 000000006838: D100003F 00A1013F
	v_mov_b32_e32 v14, v18                                     // 000000006840: 7E1C0312
	v_mul_f32_e32 v63, s64, v63                                // 000000006844: 0A7E7E40
	v_exp_f32_e32 v63, v63                                     // 000000006848: 7E7E413F
	s_waitcnt lgkmcnt(0)                                       // 00000000684C: BF8CC07F
	s_barrier                                                  // 000000006850: BF8A0000
	ds_read_b32 v80, v10 offset:20992                          // 000000006854: D86C5200 5000000A
	ds_read_b32 v81, v10 offset:21056                          // 00000000685C: D86C5240 5100000A
	ds_read_b32 v82, v10 offset:21120                          // 000000006864: D86C5280 5200000A
	ds_read_b32 v83, v10 offset:21184                          // 00000000686C: D86C52C0 5300000A
	ds_read_b32 v84, v10 offset:21248                          // 000000006874: D86C5300 5400000A
	ds_read_b32 v85, v10 offset:21312                          // 00000000687C: D86C5340 5500000A
	ds_read_b32 v86, v10 offset:21376                          // 000000006884: D86C5380 5600000A
	ds_read_b32 v87, v10 offset:21440                          // 00000000688C: D86C53C0 5700000A
	ds_read_b32 v88, v10 offset:21504                          // 000000006894: D86C5400 5800000A
	ds_read_b32 v89, v10 offset:21568                          // 00000000689C: D86C5440 5900000A
	ds_read_b32 v90, v10 offset:21632                          // 0000000068A4: D86C5480 5A00000A
	ds_read_b32 v91, v10 offset:21696                          // 0000000068AC: D86C54C0 5B00000A
	ds_read_b32 v92, v10 offset:21760                          // 0000000068B4: D86C5500 5C00000A
	ds_read_b32 v93, v10 offset:21824                          // 0000000068BC: D86C5540 5D00000A
	ds_read_b32 v94, v10 offset:21888                          // 0000000068C4: D86C5580 5E00000A
	ds_read_b32 v95, v10 offset:21952                          // 0000000068CC: D86C55C0 5F00000A
	v_mul_f32_e32 v47, v63, v47                                // 0000000068D4: 0A5E5F3F
	v_mov_b32_e32 v18, v128                                    // 0000000068D8: 7E240380
	v_add_f32_e32 v18, v129, v18                               // 0000000068DC: 02242581
	v_add_f32_e32 v18, v130, v18                               // 0000000068E0: 02242582
	v_add_f32_e32 v18, v131, v18                               // 0000000068E4: 02242583
	v_add_f32_e32 v18, v132, v18                               // 0000000068E8: 02242584
	v_add_f32_e32 v18, v133, v18                               // 0000000068EC: 02242585
	v_add_f32_e32 v18, v134, v18                               // 0000000068F0: 02242586
	v_add_f32_e32 v18, v135, v18                               // 0000000068F4: 02242587
	v_add_f32_e32 v18, v136, v18                               // 0000000068F8: 02242588
	v_add_f32_e32 v18, v137, v18                               // 0000000068FC: 02242589
	v_add_f32_e32 v18, v138, v18                               // 000000006900: 0224258A
	v_add_f32_e32 v18, v139, v18                               // 000000006904: 0224258B
	v_add_f32_e32 v18, v140, v18                               // 000000006908: 0224258C
	v_add_f32_e32 v18, v141, v18                               // 00000000690C: 0224258D
	v_add_f32_e32 v18, v142, v18                               // 000000006910: 0224258E
	v_add_f32_e32 v18, v143, v18                               // 000000006914: 0224258F
	v_add_f32_e32 v47, v18, v47                                // 000000006918: 025E5F12
	s_waitcnt lgkmcnt(0)                                       // 00000000691C: BF8CC07F
	v_max3_f32 v62, |v80|, |v81|, v62                          // 000000006920: D1D3033E 04FAA350
	v_max3_f32 v62, |v82|, |v83|, v62                          // 000000006928: D1D3033E 04FAA752
	v_max3_f32 v62, |v84|, |v85|, v62                          // 000000006930: D1D3033E 04FAAB54
	v_max3_f32 v62, |v86|, |v87|, v62                          // 000000006938: D1D3033E 04FAAF56
	v_max3_f32 v62, |v88|, |v89|, v62                          // 000000006940: D1D3033E 04FAB358
	v_max3_f32 v62, |v90|, |v91|, v62                          // 000000006948: D1D3033E 04FAB75A
	v_max3_f32 v62, |v92|, |v93|, v62                          // 000000006950: D1D3033E 04FABB5C
	v_max3_f32 v62, |v94|, |v95|, v62                          // 000000006958: D1D3033E 04FABF5E
	s_nop 2                                                    // 000000006960: BF800002
	v_rcp_f32_e32 v62, v62                                     // 000000006964: 7E7C453E
	s_nop 1                                                    // 000000006968: BF800001
	v_mul_f32_e32 v62, 0x42fe0000, v62                         // 00000000696C: 0A7C7CFF 42FE0000
	v_mul_f32_e32 v128, v62, v240                              // 000000006974: 0B01E13E
	v_mul_f32_e32 v129, v62, v241                              // 000000006978: 0B03E33E
	v_mul_f32_e32 v130, v62, v242                              // 00000000697C: 0B05E53E
	v_mul_f32_e32 v131, v62, v243                              // 000000006980: 0B07E73E
	v_mul_f32_e32 v132, v62, v244                              // 000000006984: 0B09E93E
	v_mul_f32_e32 v133, v62, v245                              // 000000006988: 0B0BEB3E
	v_mul_f32_e32 v134, v62, v246                              // 00000000698C: 0B0DED3E
	v_mul_f32_e32 v135, v62, v247                              // 000000006990: 0B0FEF3E
	v_mul_f32_e32 v136, v62, v248                              // 000000006994: 0B11F13E
	v_mul_f32_e32 v137, v62, v249                              // 000000006998: 0B13F33E
	v_mul_f32_e32 v138, v62, v250                              // 00000000699C: 0B15F53E
	v_mul_f32_e32 v139, v62, v251                              // 0000000069A0: 0B17F73E
	v_mul_f32_e32 v140, v62, v252                              // 0000000069A4: 0B19F93E
	v_mul_f32_e32 v141, v62, v253                              // 0000000069A8: 0B1BFB3E
	v_mul_f32_e32 v142, v62, v254                              // 0000000069AC: 0B1DFD3E
	v_mul_f32_e32 v143, v62, v255                              // 0000000069B0: 0B1FFF3E
	v_cvt_i32_f32_e32 v128, v128                               // 0000000069B4: 7F001180
	v_cvt_i32_f32_e32 v129, v129                               // 0000000069B8: 7F021181
	v_cvt_i32_f32_e32 v130, v130                               // 0000000069BC: 7F041182
	v_cvt_i32_f32_e32 v131, v131                               // 0000000069C0: 7F061183
	v_cvt_i32_f32_e32 v132, v132                               // 0000000069C4: 7F081184
	v_cvt_i32_f32_e32 v133, v133                               // 0000000069C8: 7F0A1185
	v_cvt_i32_f32_e32 v134, v134                               // 0000000069CC: 7F0C1186
	v_cvt_i32_f32_e32 v135, v135                               // 0000000069D0: 7F0E1187
	v_cvt_i32_f32_e32 v136, v136                               // 0000000069D4: 7F101188
	v_cvt_i32_f32_e32 v137, v137                               // 0000000069D8: 7F121189
	v_cvt_i32_f32_e32 v138, v138                               // 0000000069DC: 7F14118A
	v_cvt_i32_f32_e32 v139, v139                               // 0000000069E0: 7F16118B
	v_cvt_i32_f32_e32 v140, v140                               // 0000000069E4: 7F18118C
	v_cvt_i32_f32_e32 v141, v141                               // 0000000069E8: 7F1A118D
	v_cvt_i32_f32_e32 v142, v142                               // 0000000069EC: 7F1C118E
	v_cvt_i32_f32_e32 v143, v143                               // 0000000069F0: 7F1E118F
	v_perm_b32 v128, v129, v128, s53                           // 0000000069F4: D1ED0080 00D70181
	v_perm_b32 v128, v130, v128, s54                           // 0000000069FC: D1ED0080 00DB0182
	v_perm_b32 v128, v131, v128, s55                           // 000000006A04: D1ED0080 00DF0183
	v_perm_b32 v129, v133, v132, s53                           // 000000006A0C: D1ED0081 00D70985
	v_perm_b32 v129, v134, v129, s54                           // 000000006A14: D1ED0081 00DB0386
	v_perm_b32 v129, v135, v129, s55                           // 000000006A1C: D1ED0081 00DF0387
	v_perm_b32 v130, v137, v136, s53                           // 000000006A24: D1ED0082 00D71189
	v_perm_b32 v130, v138, v130, s54                           // 000000006A2C: D1ED0082 00DB058A
	v_perm_b32 v130, v139, v130, s55                           // 000000006A34: D1ED0082 00DF058B
	v_perm_b32 v131, v141, v140, s53                           // 000000006A3C: D1ED0083 00D7198D
	v_perm_b32 v131, v142, v131, s54                           // 000000006A44: D1ED0083 00DB078E
	v_perm_b32 v131, v143, v131, s55                           // 000000006A4C: D1ED0083 00DF078F
	ds_write_b32 v13, v128 offset:25088                        // 000000006A54: D81A6200 0000800D
	ds_write_b32 v13, v129 offset:26112                        // 000000006A5C: D81A6600 0000810D
	ds_write_b32 v13, v130 offset:27136                        // 000000006A64: D81A6A00 0000820D
	ds_write_b32 v13, v131 offset:28160                        // 000000006A6C: D81A6E00 0000830D
	v_add_f32_e32 v224, v224, v192                             // 000000006A74: 03C181E0
	v_add_f32_e32 v225, v225, v193                             // 000000006A78: 03C383E1
	v_add_f32_e32 v226, v226, v194                             // 000000006A7C: 03C585E2
	v_add_f32_e32 v227, v227, v195                             // 000000006A80: 03C787E3
	v_add_f32_e32 v228, v228, v196                             // 000000006A84: 03C989E4
	v_add_f32_e32 v229, v229, v197                             // 000000006A88: 03CB8BE5
	v_add_f32_e32 v230, v230, v198                             // 000000006A8C: 03CD8DE6
	v_add_f32_e32 v231, v231, v199                             // 000000006A90: 03CF8FE7
	v_rcp_f32_e32 v58, v62                                     // 000000006A94: 7E74453E
	s_waitcnt lgkmcnt(0)                                       // 000000006A98: BF8CC07F
	s_barrier                                                  // 000000006A9C: BF8A0000
	ds_read_b64 v[128:129], v12 offset:25088                   // 000000006AA0: D8EC6200 8000000C
	ds_read_b64 v[130:131], v12 offset:25216                   // 000000006AA8: D8EC6280 8200000C
	ds_read_b64 v[132:133], v12 offset:26112                   // 000000006AB0: D8EC6600 8400000C
	ds_read_b64 v[134:135], v12 offset:26240                   // 000000006AB8: D8EC6680 8600000C
	ds_read_b64 v[136:137], v12 offset:27136                   // 000000006AC0: D8EC6A00 8800000C
	ds_read_b64 v[138:139], v12 offset:27264                   // 000000006AC8: D8EC6A80 8A00000C
	ds_read_b64 v[140:141], v12 offset:28160                   // 000000006AD0: D8EC6E00 8C00000C
	ds_read_b64 v[142:143], v12 offset:28288                   // 000000006AD8: D8EC6E80 8E00000C
	s_waitcnt vmcnt(15)                                        // 000000006AE0: BF8C0F7F
	s_waitcnt lgkmcnt(7)                                       // 000000006AE4: BF8CC77F
	v_mfma_i32_16x16x32_i8 v[192:195], a[64:65], v[128:129], 0 // 000000006AE8: D3D700C0 0A030140
	s_waitcnt lgkmcnt(6)                                       // 000000006AF0: BF8CC67F
	v_mfma_i32_16x16x32_i8 v[192:195], a[66:67], v[130:131], v[192:195]// 000000006AF4: D3D700C0 0F030542
	buffer_load_dwordx4 a[112:115], v37, s[20:23], 0 offen offset:1024// 000000006AFC: E05C1400 80857025
	s_waitcnt lgkmcnt(5)                                       // 000000006B04: BF8CC57F
	v_mfma_i32_16x16x32_i8 v[192:195], a[68:69], v[132:133], v[192:195]// 000000006B08: D3D700C0 0F030944
	s_waitcnt lgkmcnt(4)                                       // 000000006B10: BF8CC47F
	v_mfma_i32_16x16x32_i8 v[192:195], a[70:71], v[134:135], v[192:195]// 000000006B14: D3D700C0 0F030D46
	s_waitcnt lgkmcnt(3)                                       // 000000006B1C: BF8CC37F
	v_mfma_i32_16x16x32_i8 v[192:195], a[72:73], v[136:137], v[192:195]// 000000006B20: D3D700C0 0F031148
	s_waitcnt lgkmcnt(2)                                       // 000000006B28: BF8CC27F
	v_mfma_i32_16x16x32_i8 v[192:195], a[74:75], v[138:139], v[192:195]// 000000006B2C: D3D700C0 0F03154A
	buffer_load_dwordx4 a[116:119], v38, s[20:23], 0 offen offset:1024// 000000006B34: E05C1400 80857426
	s_waitcnt lgkmcnt(1)                                       // 000000006B3C: BF8CC17F
	v_mfma_i32_16x16x32_i8 v[192:195], a[76:77], v[140:141], v[192:195]// 000000006B40: D3D700C0 0F03194C
	s_waitcnt lgkmcnt(0)                                       // 000000006B48: BF8CC07F
	v_mfma_i32_16x16x32_i8 v[192:195], a[78:79], v[142:143], v[192:195]// 000000006B4C: D3D700C0 0F031D4E
	v_mfma_i32_16x16x32_i8 v[196:199], a[80:81], v[128:129], 0 // 000000006B54: D3D700C4 0A030150
	v_mfma_i32_16x16x32_i8 v[196:199], a[82:83], v[130:131], v[196:199]// 000000006B5C: D3D700C4 0F130552
	buffer_load_dwordx4 a[120:123], v39, s[20:23], 0 offen offset:1024// 000000006B64: E05C1400 80857827
	v_mfma_i32_16x16x32_i8 v[196:199], a[84:85], v[132:133], v[196:199]// 000000006B6C: D3D700C4 0F130954
	v_mfma_i32_16x16x32_i8 v[196:199], a[86:87], v[134:135], v[196:199]// 000000006B74: D3D700C4 0F130D56
	v_mfma_i32_16x16x32_i8 v[196:199], a[88:89], v[136:137], v[196:199]// 000000006B7C: D3D700C4 0F131158
	v_mfma_i32_16x16x32_i8 v[196:199], a[90:91], v[138:139], v[196:199]// 000000006B84: D3D700C4 0F13155A
	buffer_load_dwordx4 a[124:127], v40, s[20:23], 0 offen offset:1024// 000000006B8C: E05C1400 80857C28
	v_mfma_i32_16x16x32_i8 v[196:199], a[92:93], v[140:141], v[196:199]// 000000006B94: D3D700C4 0F13195C
	s_lshr_b32 s57, s70, 4                                     // 000000006B9C: 8F398446
	s_add_u32 s57, 48, s57                                     // 000000006BA0: 803939B0
	v_mfma_i32_16x16x32_i8 v[196:199], a[94:95], v[142:143], v[196:199]// 000000006BA4: D3D700C4 0F131D5E
	s_cmp_ge_u32 s57, s73                                      // 000000006BAC: BF094939
	s_cselect_b32 s56, 0, s56                                  // 000000006BB0: 85383880
	v_add_u32_e32 v1, s56, v1                                  // 000000006BB4: 68020238
	s_addk_i32 s70, 0x100                                      // 000000006BB8: B7460100
	s_cmp_lt_i32 s70, s71                                      // 000000006BBC: BF044746
	s_cbranch_scc0 label_14F0                                  // 000000006BC0: BF84027F
	s_waitcnt vmcnt(8) lgkmcnt(0)                              // 000000006BC4: BF8C0078
	v_mul_u32_u24_dpp v41, v19, v68 row_newbcast:0 row_mask:0xf bank_mask:0xf// 000000006BC8: 105288FA FF015013
	v_mul_u32_u24_dpp v42, v19, v68 row_newbcast:4 row_mask:0xf bank_mask:0xf// 000000006BD0: 105488FA FF015413
	v_mul_u32_u24_dpp v43, v19, v68 row_newbcast:8 row_mask:0xf bank_mask:0xf// 000000006BD8: 105688FA FF015813
	v_mul_u32_u24_dpp v44, v19, v68 row_newbcast:12 row_mask:0xf bank_mask:0xf// 000000006BE0: 105888FA FF015C13
	v_add_u32_e32 v25, v41, v6                                 // 000000006BE8: 68320D29
	v_add_u32_e32 v26, v42, v6                                 // 000000006BEC: 68340D2A
	v_add_u32_e32 v27, v43, v6                                 // 000000006BF0: 68360D2B
	v_add_u32_e32 v28, v44, v6                                 // 000000006BF4: 68380D2C
	v_mul_u32_u24_dpp v41, v19, v78 quad_perm:[0,0,0,0] row_mask:0xf bank_mask:0xf// 000000006BF8: 10529CFA FF000013
	v_add_u32_e32 v2, v41, v74                                 // 000000006C00: 68049529
	v_mul_u32_u24_dpp v41, v19, v78 quad_perm:[0,0,0,0] row_mask:0xf bank_mask:0xf// 000000006C04: 10529CFA FF000013
	v_add_u32_e32 v70, v41, v75                                // 000000006C0C: 688C9729
	v_mfma_i32_16x16x32_i8 v[128:131], a[32:33], v[96:97], 0   // 000000006C10: D3D70080 0A02C120
	v_mfma_i32_16x16x32_i8 v[128:131], a[34:35], v[98:99], v[128:131]// 000000006C18: D3D70080 0E02C522
	buffer_load_dwordx4 a[0:3], v25, s[16:19], 0 offen         // 000000006C20: E05C1000 80840019
	v_mfma_i32_16x16x32_i8 v[128:131], a[36:37], v[100:101], v[128:131]// 000000006C28: D3D70080 0E02C924
	v_mfma_i32_16x16x32_i8 v[128:131], a[38:39], v[102:103], v[128:131]// 000000006C30: D3D70080 0E02CD26
	buffer_load_dword v20, v1, s[24:27], 0 offen               // 000000006C38: E0501000 80061401
	v_mfma_i32_16x16x32_i8 v[132:135], a[40:41], v[96:97], 0   // 000000006C40: D3D70084 0A02C128
	v_mfma_i32_16x16x32_i8 v[132:135], a[42:43], v[98:99], v[132:135]// 000000006C48: D3D70084 0E12C52A
	buffer_load_dwordx4 a[4:7], v25, s[16:19], 0 offen offset:1024// 000000006C50: E05C1400 80840419
	v_mfma_i32_16x16x32_i8 v[132:135], a[44:45], v[100:101], v[132:135]// 000000006C58: D3D70084 0E12C92C
	v_mfma_i32_16x16x32_i8 v[132:135], a[46:47], v[102:103], v[132:135]// 000000006C60: D3D70084 0E12CD2E
	v_mfma_i32_16x16x32_i8 v[136:139], a[48:49], v[96:97], 0   // 000000006C68: D3D70088 0A02C130
	v_mfma_i32_16x16x32_i8 v[136:139], a[50:51], v[98:99], v[136:139]// 000000006C70: D3D70088 0E22C532
	buffer_load_dwordx4 a[8:11], v26, s[16:19], 0 offen        // 000000006C78: E05C1000 8084081A
	v_mfma_i32_16x16x32_i8 v[136:139], a[52:53], v[100:101], v[136:139]// 000000006C80: D3D70088 0E22C934
	v_mfma_i32_16x16x32_i8 v[136:139], a[54:55], v[102:103], v[136:139]// 000000006C88: D3D70088 0E22CD36
	v_mfma_i32_16x16x32_i8 v[140:143], a[56:57], v[96:97], 0   // 000000006C90: D3D7008C 0A02C138
	v_mfma_i32_16x16x32_i8 v[140:143], a[58:59], v[98:99], v[140:143]// 000000006C98: D3D7008C 0E32C53A
	buffer_load_dwordx4 a[12:15], v26, s[16:19], 0 offen offset:1024// 000000006CA0: E05C1400 80840C1A
	v_mfma_i32_16x16x32_i8 v[140:143], a[60:61], v[100:101], v[140:143]// 000000006CA8: D3D7008C 0E32C93C
	v_mfma_i32_16x16x32_i8 v[140:143], a[62:63], v[102:103], v[140:143]// 000000006CB0: D3D7008C 0E32CD3E
	buffer_load_dword v52, v2, s[32:35], 0 offen               // 000000006CB8: E0501000 80083402
	v_mov_b32_dpp v41, v53 row_shr:4 row_mask:0xf bank_mask:0xf// 000000006CC0: 7E5202FA FF011435
	v_mov_b32_dpp v42, v53 row_shl:4 row_mask:0xf bank_mask:0xf// 000000006CC8: 7E5402FA FF010435
	v_cndmask_b32_e64 v248, v53, v41, s[44:45]                 // 000000006CD0: D10000F8 00B25335
	v_cndmask_b32_e64 v249, v42, v53, s[44:45]                 // 000000006CD8: D10000F9 00B26B2A
	v_mov_b32_dpp v41, v248 row_shr:8 row_mask:0xf bank_mask:0xf// 000000006CE0: 7E5202FA FF0118F8
	v_mov_b32_dpp v42, v248 row_shl:8 row_mask:0xf bank_mask:0xf// 000000006CE8: 7E5402FA FF0108F8
	v_mov_b32_dpp v43, v249 row_shr:8 row_mask:0xf bank_mask:0xf// 000000006CF0: 7E5602FA FF0118F9
	v_mov_b32_dpp v44, v249 row_shl:8 row_mask:0xf bank_mask:0xf// 000000006CF8: 7E5802FA FF0108F9
	v_mov_b32_e32 v45, v248                                    // 000000006D00: 7E5A03F8
	v_mov_b32_e32 v46, v249                                    // 000000006D04: 7E5C03F9
	v_cndmask_b32_e64 v248, v45, v41, s[42:43]                 // 000000006D08: D10000F8 00AA532D
	v_cndmask_b32_e64 v250, v45, v42, s[78:79]                 // 000000006D10: D10000FA 013A552D
	v_cndmask_b32_e64 v249, v46, v43, s[42:43]                 // 000000006D18: D10000F9 00AA572E
	v_cndmask_b32_e64 v251, v46, v44, s[78:79]                 // 000000006D20: D10000FB 013A592E
	v_mov_b32_dpp v41, v73 row_shr:4 row_mask:0xf bank_mask:0xf// 000000006D28: 7E5202FA FF011449
	v_mov_b32_dpp v42, v73 row_shl:4 row_mask:0xf bank_mask:0xf// 000000006D30: 7E5402FA FF010449
	v_cndmask_b32_e64 v252, v73, v41, s[44:45]                 // 000000006D38: D10000FC 00B25349
	v_cndmask_b32_e64 v253, v42, v73, s[44:45]                 // 000000006D40: D10000FD 00B2932A
	v_mov_b32_dpp v41, v252 row_shr:8 row_mask:0xf bank_mask:0xf// 000000006D48: 7E5202FA FF0118FC
	v_mov_b32_dpp v42, v252 row_shl:8 row_mask:0xf bank_mask:0xf// 000000006D50: 7E5402FA FF0108FC
	v_mov_b32_dpp v43, v253 row_shr:8 row_mask:0xf bank_mask:0xf// 000000006D58: 7E5602FA FF0118FD
	v_mov_b32_dpp v44, v253 row_shl:8 row_mask:0xf bank_mask:0xf// 000000006D60: 7E5802FA FF0108FD
	v_mov_b32_e32 v45, v252                                    // 000000006D68: 7E5A03FC
	v_mov_b32_e32 v46, v253                                    // 000000006D6C: 7E5C03FD
	v_cndmask_b32_e64 v252, v45, v41, s[42:43]                 // 000000006D70: D10000FC 00AA532D
	v_cndmask_b32_e64 v254, v45, v42, s[78:79]                 // 000000006D78: D10000FE 013A552D
	v_cndmask_b32_e64 v253, v46, v43, s[42:43]                 // 000000006D80: D10000FD 00AA572E
	v_cndmask_b32_e64 v255, v46, v44, s[78:79]                 // 000000006D88: D10000FF 013A592E
	buffer_load_dword v72, v70, s[36:39], 0 offen              // 000000006D90: E0501000 80094846
	v_cvt_f32_i32_e32 v128, v128                               // 000000006D98: 7F000B80
	v_cvt_f32_i32_e32 v129, v129                               // 000000006D9C: 7F020B81
	v_cvt_f32_i32_e32 v130, v130                               // 000000006DA0: 7F040B82
	v_cvt_f32_i32_e32 v131, v131                               // 000000006DA4: 7F060B83
	v_cvt_f32_i32_e32 v132, v132                               // 000000006DA8: 7F080B84
	v_cvt_f32_i32_e32 v133, v133                               // 000000006DAC: 7F0A0B85
	v_cvt_f32_i32_e32 v134, v134                               // 000000006DB0: 7F0C0B86
	v_cvt_f32_i32_e32 v135, v135                               // 000000006DB4: 7F0E0B87
	v_cvt_f32_i32_e32 v136, v136                               // 000000006DB8: 7F100B88
	v_cvt_f32_i32_e32 v137, v137                               // 000000006DBC: 7F120B89
	v_cvt_f32_i32_e32 v138, v138                               // 000000006DC0: 7F140B8A
	v_cvt_f32_i32_e32 v139, v139                               // 000000006DC4: 7F160B8B
	v_cvt_f32_i32_e32 v140, v140                               // 000000006DC8: 7F180B8C
	v_cvt_f32_i32_e32 v141, v141                               // 000000006DCC: 7F1A0B8D
	v_cvt_f32_i32_e32 v142, v142                               // 000000006DD0: 7F1C0B8E
	v_cvt_f32_i32_e32 v143, v143                               // 000000006DD4: 7F1E0B8F
	v_mul_f32_e32 v128, v54, v128                              // 000000006DD8: 0B010136
	v_mul_f32_e32 v129, v54, v129                              // 000000006DDC: 0B030336
	v_mul_f32_e32 v130, v54, v130                              // 000000006DE0: 0B050536
	v_mul_f32_e32 v131, v54, v131                              // 000000006DE4: 0B070736
	v_mul_f32_e32 v132, v54, v132                              // 000000006DE8: 0B090936
	v_mul_f32_e32 v133, v54, v133                              // 000000006DEC: 0B0B0B36
	v_mul_f32_e32 v134, v54, v134                              // 000000006DF0: 0B0D0D36
	v_mul_f32_e32 v135, v54, v135                              // 000000006DF4: 0B0F0F36
	v_mul_f32_e32 v136, v54, v136                              // 000000006DF8: 0B111136
	v_mul_f32_e32 v137, v54, v137                              // 000000006DFC: 0B131336
	v_mul_f32_e32 v138, v54, v138                              // 000000006E00: 0B151536
	v_mul_f32_e32 v139, v54, v139                              // 000000006E04: 0B171736
	v_mul_f32_e32 v140, v54, v140                              // 000000006E08: 0B191936
	v_mul_f32_e32 v141, v54, v141                              // 000000006E0C: 0B1B1B36
	v_mul_f32_e32 v142, v54, v142                              // 000000006E10: 0B1D1D36
	v_mul_f32_e32 v143, v54, v143                              // 000000006E14: 0B1F1F36
	buffer_load_dwordx4 a[16:19], v27, s[16:19], 0 offen       // 000000006E18: E05C1000 8084101B
	v_mul_f32_dpp v128, v248, v128 quad_perm:[0,0,0,0] row_mask:0xf bank_mask:0xf// 000000006E20: 0B0100FA FF0000F8
	v_mul_f32_dpp v129, v248, v129 quad_perm:[1,1,1,1] row_mask:0xf bank_mask:0xf// 000000006E28: 0B0302FA FF0055F8
	v_mul_f32_dpp v130, v248, v130 quad_perm:[2,2,2,2] row_mask:0xf bank_mask:0xf// 000000006E30: 0B0504FA FF00AAF8
	v_mul_f32_dpp v131, v248, v131 quad_perm:[3,3,3,3] row_mask:0xf bank_mask:0xf// 000000006E38: 0B0706FA FF00FFF8
	v_mul_f32_dpp v132, v249, v132 quad_perm:[0,0,0,0] row_mask:0xf bank_mask:0xf// 000000006E40: 0B0908FA FF0000F9
	v_mul_f32_dpp v133, v249, v133 quad_perm:[1,1,1,1] row_mask:0xf bank_mask:0xf// 000000006E48: 0B0B0AFA FF0055F9
	v_mul_f32_dpp v134, v249, v134 quad_perm:[2,2,2,2] row_mask:0xf bank_mask:0xf// 000000006E50: 0B0D0CFA FF00AAF9
	v_mul_f32_dpp v135, v249, v135 quad_perm:[3,3,3,3] row_mask:0xf bank_mask:0xf// 000000006E58: 0B0F0EFA FF00FFF9
	v_mul_f32_dpp v136, v250, v136 quad_perm:[0,0,0,0] row_mask:0xf bank_mask:0xf// 000000006E60: 0B1110FA FF0000FA
	v_mul_f32_dpp v137, v250, v137 quad_perm:[1,1,1,1] row_mask:0xf bank_mask:0xf// 000000006E68: 0B1312FA FF0055FA
	v_mul_f32_dpp v138, v250, v138 quad_perm:[2,2,2,2] row_mask:0xf bank_mask:0xf// 000000006E70: 0B1514FA FF00AAFA
	v_mul_f32_dpp v139, v250, v139 quad_perm:[3,3,3,3] row_mask:0xf bank_mask:0xf// 000000006E78: 0B1716FA FF00FFFA
	v_mul_f32_dpp v140, v251, v140 quad_perm:[0,0,0,0] row_mask:0xf bank_mask:0xf// 000000006E80: 0B1918FA FF0000FB
	v_mul_f32_dpp v141, v251, v141 quad_perm:[1,1,1,1] row_mask:0xf bank_mask:0xf// 000000006E88: 0B1B1AFA FF0055FB
	v_mul_f32_dpp v142, v251, v142 quad_perm:[2,2,2,2] row_mask:0xf bank_mask:0xf// 000000006E90: 0B1D1CFA FF00AAFB
	v_mul_f32_dpp v143, v251, v143 quad_perm:[3,3,3,3] row_mask:0xf bank_mask:0xf// 000000006E98: 0B1F1EFA FF00FFFB
	buffer_load_dwordx4 a[20:23], v27, s[16:19], 0 offen offset:1024// 000000006EA0: E05C1400 8084141B
	v_mov_b32_e32 v62, v128                                    // 000000006EA8: 7E7C0380
	v_max3_f32 v62, v128, v129, v62                            // 000000006EAC: D1D3003E 04FB0380
	v_max3_f32 v62, v130, v131, v62                            // 000000006EB4: D1D3003E 04FB0782
	v_max3_f32 v62, v132, v133, v62                            // 000000006EBC: D1D3003E 04FB0B84
	v_max3_f32 v62, v134, v135, v62                            // 000000006EC4: D1D3003E 04FB0F86
	v_max3_f32 v62, v136, v137, v62                            // 000000006ECC: D1D3003E 04FB1388
	v_max3_f32 v62, v138, v139, v62                            // 000000006ED4: D1D3003E 04FB178A
	v_max3_f32 v62, v140, v141, v62                            // 000000006EDC: D1D3003E 04FB1B8C
	v_max3_f32 v62, v142, v143, v62                            // 000000006EE4: D1D3003E 04FB1F8E
	ds_write_b32 v11, v62 offset:16896                         // 000000006EEC: D81A4200 00003E0B
	buffer_load_dwordx4 a[24:27], v28, s[16:19], 0 offen       // 000000006EF4: E05C1000 8084181C
	v_mul_u32_u24_dpp v41, v19, v68 row_newbcast:1 row_mask:0xf bank_mask:0xf// 000000006EFC: 105288FA FF015113
	v_mul_u32_u24_dpp v42, v19, v68 row_newbcast:5 row_mask:0xf bank_mask:0xf// 000000006F04: 105488FA FF015513
	v_mul_u32_u24_dpp v43, v19, v68 row_newbcast:9 row_mask:0xf bank_mask:0xf// 000000006F0C: 105688FA FF015913
	v_mul_u32_u24_dpp v44, v19, v68 row_newbcast:13 row_mask:0xf bank_mask:0xf// 000000006F14: 105888FA FF015D13
	v_add_u32_e32 v33, v41, v7                                 // 000000006F1C: 68420F29
	v_add_u32_e32 v34, v42, v7                                 // 000000006F20: 68440F2A
	v_add_u32_e32 v35, v43, v7                                 // 000000006F24: 68460F2B
	v_add_u32_e32 v36, v44, v7                                 // 000000006F28: 68480F2C
	v_mul_f32_e32 v224, v63, v224                              // 000000006F2C: 0BC1C13F
	v_mul_f32_e32 v225, v63, v225                              // 000000006F30: 0BC3C33F
	v_mul_f32_e32 v226, v63, v226                              // 000000006F34: 0BC5C53F
	v_mul_f32_e32 v227, v63, v227                              // 000000006F38: 0BC7C73F
	v_mul_f32_e32 v228, v63, v228                              // 000000006F3C: 0BC9C93F
	v_mul_f32_e32 v229, v63, v229                              // 000000006F40: 0BCBCB3F
	v_mul_f32_e32 v230, v63, v230                              // 000000006F44: 0BCDCD3F
	v_mul_f32_e32 v231, v63, v231                              // 000000006F48: 0BCFCF3F
	s_waitcnt lgkmcnt(0)                                       // 000000006F4C: BF8CC07F
	s_barrier                                                  // 000000006F50: BF8A0000
	ds_read_b32 v80, v10 offset:16896                          // 000000006F54: D86C4200 5000000A
	ds_read_b32 v81, v10 offset:16960                          // 000000006F5C: D86C4240 5100000A
	ds_read_b32 v82, v10 offset:17024                          // 000000006F64: D86C4280 5200000A
	ds_read_b32 v83, v10 offset:17088                          // 000000006F6C: D86C42C0 5300000A
	ds_read_b32 v84, v10 offset:17152                          // 000000006F74: D86C4300 5400000A
	ds_read_b32 v85, v10 offset:17216                          // 000000006F7C: D86C4340 5500000A
	ds_read_b32 v86, v10 offset:17280                          // 000000006F84: D86C4380 5600000A
	ds_read_b32 v87, v10 offset:17344                          // 000000006F8C: D86C43C0 5700000A
	ds_read_b32 v88, v10 offset:17408                          // 000000006F94: D86C4400 5800000A
	ds_read_b32 v89, v10 offset:17472                          // 000000006F9C: D86C4440 5900000A
	ds_read_b32 v90, v10 offset:17536                          // 000000006FA4: D86C4480 5A00000A
	ds_read_b32 v91, v10 offset:17600                          // 000000006FAC: D86C44C0 5B00000A
	ds_read_b32 v92, v10 offset:17664                          // 000000006FB4: D86C4500 5C00000A
	ds_read_b32 v93, v10 offset:17728                          // 000000006FBC: D86C4540 5D00000A
	ds_read_b32 v94, v10 offset:17792                          // 000000006FC4: D86C4580 5E00000A
	ds_read_b32 v95, v10 offset:17856                          // 000000006FCC: D86C45C0 5F00000A
	buffer_load_dwordx4 a[28:31], v28, s[16:19], 0 offen offset:1024// 000000006FD4: E05C1400 80841C1C
	v_cvt_f32_i32_e32 v192, v192                               // 000000006FDC: 7F800BC0
	v_cvt_f32_i32_e32 v193, v193                               // 000000006FE0: 7F820BC1
	v_cvt_f32_i32_e32 v194, v194                               // 000000006FE4: 7F840BC2
	v_cvt_f32_i32_e32 v195, v195                               // 000000006FE8: 7F860BC3
	v_cvt_f32_i32_e32 v196, v196                               // 000000006FEC: 7F880BC4
	v_cvt_f32_i32_e32 v197, v197                               // 000000006FF0: 7F8A0BC5
	v_cvt_f32_i32_e32 v198, v198                               // 000000006FF4: 7F8C0BC6
	v_cvt_f32_i32_e32 v199, v199                               // 000000006FF8: 7F8E0BC7
	v_mul_f32_e32 v192, v58, v192                              // 000000006FFC: 0B81813A
	v_mul_f32_e32 v193, v58, v193                              // 000000007000: 0B83833A
	v_mul_f32_e32 v194, v58, v194                              // 000000007004: 0B85853A
	v_mul_f32_e32 v195, v58, v195                              // 000000007008: 0B87873A
	v_mul_f32_e32 v196, v58, v196                              // 00000000700C: 0B89893A
	v_mul_f32_e32 v197, v58, v197                              // 000000007010: 0B8B8B3A
	v_mul_f32_e32 v198, v58, v198                              // 000000007014: 0B8D8D3A
	v_mul_f32_e32 v199, v58, v199                              // 000000007018: 0B8F8F3A
	s_waitcnt lgkmcnt(0)                                       // 00000000701C: BF8CC07F
	v_max3_f32 v62, v80, v81, v62                              // 000000007020: D1D3003E 04FAA350
	v_max3_f32 v62, v82, v83, v62                              // 000000007028: D1D3003E 04FAA752
	v_max3_f32 v62, v84, v85, v62                              // 000000007030: D1D3003E 04FAAB54
	v_max3_f32 v62, v86, v87, v62                              // 000000007038: D1D3003E 04FAAF56
	v_max3_f32 v62, v88, v89, v62                              // 000000007040: D1D3003E 04FAB358
	v_max3_f32 v62, v90, v91, v62                              // 000000007048: D1D3003E 04FAB75A
	v_max3_f32 v62, v92, v93, v62                              // 000000007050: D1D3003E 04FABB5C
	v_max3_f32 v62, v94, v95, v62                              // 000000007058: D1D3003E 04FABF5E
	buffer_load_dwordx4 a[64:67], v33, s[20:23], 0 offen       // 000000007060: E05C1000 80854021
	v_mov_b32_e32 v41, 0xff800000                              // 000000007068: 7E5202FF FF800000
	v_cmp_eq_u32_e64 s[40:41], v41, v14                        // 000000007070: D0CA0028 00021D29
	s_nop 1                                                    // 000000007078: BF800001
	v_max_f32_e32 v18, v62, v14                                // 00000000707C: 16241D3E
	v_mul_f32_e32 v67, s64, v18                                // 000000007080: 0A862440
	v_fma_f32 v128, v128, s64, -v67                            // 000000007084: D1CB0080 850C8180
	v_fma_f32 v129, v129, s64, -v67                            // 00000000708C: D1CB0081 850C8181
	v_fma_f32 v130, v130, s64, -v67                            // 000000007094: D1CB0082 850C8182
	v_fma_f32 v131, v131, s64, -v67                            // 00000000709C: D1CB0083 850C8183
	v_fma_f32 v132, v132, s64, -v67                            // 0000000070A4: D1CB0084 850C8184
	v_fma_f32 v133, v133, s64, -v67                            // 0000000070AC: D1CB0085 850C8185
	v_fma_f32 v134, v134, s64, -v67                            // 0000000070B4: D1CB0086 850C8186
	v_fma_f32 v135, v135, s64, -v67                            // 0000000070BC: D1CB0087 850C8187
	v_fma_f32 v136, v136, s64, -v67                            // 0000000070C4: D1CB0088 850C8188
	v_fma_f32 v137, v137, s64, -v67                            // 0000000070CC: D1CB0089 850C8189
	v_fma_f32 v138, v138, s64, -v67                            // 0000000070D4: D1CB008A 850C818A
	v_fma_f32 v139, v139, s64, -v67                            // 0000000070DC: D1CB008B 850C818B
	v_fma_f32 v140, v140, s64, -v67                            // 0000000070E4: D1CB008C 850C818C
	v_fma_f32 v141, v141, s64, -v67                            // 0000000070EC: D1CB008D 850C818D
	v_fma_f32 v142, v142, s64, -v67                            // 0000000070F4: D1CB008E 850C818E
	v_fma_f32 v143, v143, s64, -v67                            // 0000000070FC: D1CB008F 850C818F
	buffer_load_dwordx4 a[68:71], v34, s[20:23], 0 offen       // 000000007104: E05C1000 80854422
	v_exp_f32_e32 v128, v128                                   // 00000000710C: 7F004180
	v_exp_f32_e32 v129, v129                                   // 000000007110: 7F024181
	v_exp_f32_e32 v130, v130                                   // 000000007114: 7F044182
	v_exp_f32_e32 v131, v131                                   // 000000007118: 7F064183
	v_exp_f32_e32 v132, v132                                   // 00000000711C: 7F084184
	v_exp_f32_e32 v133, v133                                   // 000000007120: 7F0A4185
	v_exp_f32_e32 v134, v134                                   // 000000007124: 7F0C4186
	v_exp_f32_e32 v135, v135                                   // 000000007128: 7F0E4187
	v_exp_f32_e32 v136, v136                                   // 00000000712C: 7F104188
	v_exp_f32_e32 v137, v137                                   // 000000007130: 7F124189
	v_exp_f32_e32 v138, v138                                   // 000000007134: 7F14418A
	v_exp_f32_e32 v139, v139                                   // 000000007138: 7F16418B
	v_exp_f32_e32 v140, v140                                   // 00000000713C: 7F18418C
	v_exp_f32_e32 v141, v141                                   // 000000007140: 7F1A418D
	v_exp_f32_e32 v142, v142                                   // 000000007144: 7F1C418E
	v_exp_f32_e32 v143, v143                                   // 000000007148: 7F1E418F
	buffer_load_dwordx4 a[72:75], v35, s[20:23], 0 offen       // 00000000714C: E05C1000 80854823
	v_mul_f32_dpp v240, v252, v128 quad_perm:[0,0,0,0] row_mask:0xf bank_mask:0xf// 000000007154: 0BE100FA FF0000FC
	v_mul_f32_dpp v241, v252, v129 quad_perm:[1,1,1,1] row_mask:0xf bank_mask:0xf// 00000000715C: 0BE302FA FF0055FC
	v_mul_f32_dpp v242, v252, v130 quad_perm:[2,2,2,2] row_mask:0xf bank_mask:0xf// 000000007164: 0BE504FA FF00AAFC
	v_mul_f32_dpp v243, v252, v131 quad_perm:[3,3,3,3] row_mask:0xf bank_mask:0xf// 00000000716C: 0BE706FA FF00FFFC
	v_mul_f32_dpp v244, v253, v132 quad_perm:[0,0,0,0] row_mask:0xf bank_mask:0xf// 000000007174: 0BE908FA FF0000FD
	v_mul_f32_dpp v245, v253, v133 quad_perm:[1,1,1,1] row_mask:0xf bank_mask:0xf// 00000000717C: 0BEB0AFA FF0055FD
	v_mul_f32_dpp v246, v253, v134 quad_perm:[2,2,2,2] row_mask:0xf bank_mask:0xf// 000000007184: 0BED0CFA FF00AAFD
	v_mul_f32_dpp v247, v253, v135 quad_perm:[3,3,3,3] row_mask:0xf bank_mask:0xf// 00000000718C: 0BEF0EFA FF00FFFD
	v_mul_f32_dpp v248, v254, v136 quad_perm:[0,0,0,0] row_mask:0xf bank_mask:0xf// 000000007194: 0BF110FA FF0000FE
	v_mul_f32_dpp v249, v254, v137 quad_perm:[1,1,1,1] row_mask:0xf bank_mask:0xf// 00000000719C: 0BF312FA FF0055FE
	v_mul_f32_dpp v250, v254, v138 quad_perm:[2,2,2,2] row_mask:0xf bank_mask:0xf// 0000000071A4: 0BF514FA FF00AAFE
	v_mul_f32_dpp v251, v254, v139 quad_perm:[3,3,3,3] row_mask:0xf bank_mask:0xf// 0000000071AC: 0BF716FA FF00FFFE
	v_mul_f32_dpp v252, v255, v140 quad_perm:[0,0,0,0] row_mask:0xf bank_mask:0xf// 0000000071B4: 0BF918FA FF0000FF
	v_mul_f32_dpp v253, v255, v141 quad_perm:[1,1,1,1] row_mask:0xf bank_mask:0xf// 0000000071BC: 0BFB1AFA FF0055FF
	v_mul_f32_dpp v254, v255, v142 quad_perm:[2,2,2,2] row_mask:0xf bank_mask:0xf// 0000000071C4: 0BFD1CFA FF00AAFF
	v_mul_f32_dpp v255, v255, v143 quad_perm:[3,3,3,3] row_mask:0xf bank_mask:0xf// 0000000071CC: 0BFF1EFA FF00FFFF
	v_mov_b32_e32 v62, 0x358637bd                              // 0000000071D4: 7E7C02FF 358637BD
	v_max3_f32 v62, |v240|, |v241|, v62                        // 0000000071DC: D1D3033E 04FBE3F0
	v_max3_f32 v62, |v242|, |v243|, v62                        // 0000000071E4: D1D3033E 04FBE7F2
	v_max3_f32 v62, |v244|, |v245|, v62                        // 0000000071EC: D1D3033E 04FBEBF4
	v_max3_f32 v62, |v246|, |v247|, v62                        // 0000000071F4: D1D3033E 04FBEFF6
	v_max3_f32 v62, |v248|, |v249|, v62                        // 0000000071FC: D1D3033E 04FBF3F8
	v_max3_f32 v62, |v250|, |v251|, v62                        // 000000007204: D1D3033E 04FBF7FA
	v_max3_f32 v62, |v252|, |v253|, v62                        // 00000000720C: D1D3033E 04FBFBFC
	v_max3_f32 v62, |v254|, |v255|, v62                        // 000000007214: D1D3033E 04FBFFFE
	buffer_load_dwordx4 a[76:79], v36, s[20:23], 0 offen       // 00000000721C: E05C1000 80854C24
	ds_write_b32 v11, v62 offset:20992                         // 000000007224: D81A5200 00003E0B
	v_sub_f32_e32 v63, v14, v18                                // 00000000722C: 047E250E
	v_cndmask_b32_e64 v63, v63, 0, s[40:41]                    // 000000007230: D100003F 00A1013F
	v_mov_b32_e32 v14, v18                                     // 000000007238: 7E1C0312
	v_mul_f32_e32 v63, s64, v63                                // 00000000723C: 0A7E7E40
	v_exp_f32_e32 v63, v63                                     // 000000007240: 7E7E413F
	s_waitcnt lgkmcnt(0)                                       // 000000007244: BF8CC07F
	s_barrier                                                  // 000000007248: BF8A0000
	ds_read_b32 v80, v10 offset:20992                          // 00000000724C: D86C5200 5000000A
	ds_read_b32 v81, v10 offset:21056                          // 000000007254: D86C5240 5100000A
	ds_read_b32 v82, v10 offset:21120                          // 00000000725C: D86C5280 5200000A
	ds_read_b32 v83, v10 offset:21184                          // 000000007264: D86C52C0 5300000A
	ds_read_b32 v84, v10 offset:21248                          // 00000000726C: D86C5300 5400000A
	ds_read_b32 v85, v10 offset:21312                          // 000000007274: D86C5340 5500000A
	ds_read_b32 v86, v10 offset:21376                          // 00000000727C: D86C5380 5600000A
	ds_read_b32 v87, v10 offset:21440                          // 000000007284: D86C53C0 5700000A
	ds_read_b32 v88, v10 offset:21504                          // 00000000728C: D86C5400 5800000A
	ds_read_b32 v89, v10 offset:21568                          // 000000007294: D86C5440 5900000A
	ds_read_b32 v90, v10 offset:21632                          // 00000000729C: D86C5480 5A00000A
	ds_read_b32 v91, v10 offset:21696                          // 0000000072A4: D86C54C0 5B00000A
	ds_read_b32 v92, v10 offset:21760                          // 0000000072AC: D86C5500 5C00000A
	ds_read_b32 v93, v10 offset:21824                          // 0000000072B4: D86C5540 5D00000A
	ds_read_b32 v94, v10 offset:21888                          // 0000000072BC: D86C5580 5E00000A
	ds_read_b32 v95, v10 offset:21952                          // 0000000072C4: D86C55C0 5F00000A
	v_mul_f32_e32 v47, v63, v47                                // 0000000072CC: 0A5E5F3F
	v_mov_b32_e32 v18, v128                                    // 0000000072D0: 7E240380
	v_add_f32_e32 v18, v129, v18                               // 0000000072D4: 02242581
	v_add_f32_e32 v18, v130, v18                               // 0000000072D8: 02242582
	v_add_f32_e32 v18, v131, v18                               // 0000000072DC: 02242583
	v_add_f32_e32 v18, v132, v18                               // 0000000072E0: 02242584
	v_add_f32_e32 v18, v133, v18                               // 0000000072E4: 02242585
	v_add_f32_e32 v18, v134, v18                               // 0000000072E8: 02242586
	v_add_f32_e32 v18, v135, v18                               // 0000000072EC: 02242587
	v_add_f32_e32 v18, v136, v18                               // 0000000072F0: 02242588
	v_add_f32_e32 v18, v137, v18                               // 0000000072F4: 02242589
	v_add_f32_e32 v18, v138, v18                               // 0000000072F8: 0224258A
	v_add_f32_e32 v18, v139, v18                               // 0000000072FC: 0224258B
	v_add_f32_e32 v18, v140, v18                               // 000000007300: 0224258C
	v_add_f32_e32 v18, v141, v18                               // 000000007304: 0224258D
	v_add_f32_e32 v18, v142, v18                               // 000000007308: 0224258E
	v_add_f32_e32 v18, v143, v18                               // 00000000730C: 0224258F
	v_add_f32_e32 v47, v18, v47                                // 000000007310: 025E5F12
	s_waitcnt lgkmcnt(0)                                       // 000000007314: BF8CC07F
	v_max3_f32 v62, |v80|, |v81|, v62                          // 000000007318: D1D3033E 04FAA350
	v_max3_f32 v62, |v82|, |v83|, v62                          // 000000007320: D1D3033E 04FAA752
	v_max3_f32 v62, |v84|, |v85|, v62                          // 000000007328: D1D3033E 04FAAB54
	v_max3_f32 v62, |v86|, |v87|, v62                          // 000000007330: D1D3033E 04FAAF56
	v_max3_f32 v62, |v88|, |v89|, v62                          // 000000007338: D1D3033E 04FAB358
	v_max3_f32 v62, |v90|, |v91|, v62                          // 000000007340: D1D3033E 04FAB75A
	v_max3_f32 v62, |v92|, |v93|, v62                          // 000000007348: D1D3033E 04FABB5C
	v_max3_f32 v62, |v94|, |v95|, v62                          // 000000007350: D1D3033E 04FABF5E
	s_nop 2                                                    // 000000007358: BF800002
	v_rcp_f32_e32 v62, v62                                     // 00000000735C: 7E7C453E
	s_nop 1                                                    // 000000007360: BF800001
	v_mul_f32_e32 v62, 0x42fe0000, v62                         // 000000007364: 0A7C7CFF 42FE0000
	v_mul_f32_e32 v128, v62, v240                              // 00000000736C: 0B01E13E
	v_mul_f32_e32 v129, v62, v241                              // 000000007370: 0B03E33E
	v_mul_f32_e32 v130, v62, v242                              // 000000007374: 0B05E53E
	v_mul_f32_e32 v131, v62, v243                              // 000000007378: 0B07E73E
	v_mul_f32_e32 v132, v62, v244                              // 00000000737C: 0B09E93E
	v_mul_f32_e32 v133, v62, v245                              // 000000007380: 0B0BEB3E
	v_mul_f32_e32 v134, v62, v246                              // 000000007384: 0B0DED3E
	v_mul_f32_e32 v135, v62, v247                              // 000000007388: 0B0FEF3E
	v_mul_f32_e32 v136, v62, v248                              // 00000000738C: 0B11F13E
	v_mul_f32_e32 v137, v62, v249                              // 000000007390: 0B13F33E
	v_mul_f32_e32 v138, v62, v250                              // 000000007394: 0B15F53E
	v_mul_f32_e32 v139, v62, v251                              // 000000007398: 0B17F73E
	v_mul_f32_e32 v140, v62, v252                              // 00000000739C: 0B19F93E
	v_mul_f32_e32 v141, v62, v253                              // 0000000073A0: 0B1BFB3E
	v_mul_f32_e32 v142, v62, v254                              // 0000000073A4: 0B1DFD3E
	v_mul_f32_e32 v143, v62, v255                              // 0000000073A8: 0B1FFF3E
	v_cvt_i32_f32_e32 v128, v128                               // 0000000073AC: 7F001180
	v_cvt_i32_f32_e32 v129, v129                               // 0000000073B0: 7F021181
	v_cvt_i32_f32_e32 v130, v130                               // 0000000073B4: 7F041182
	v_cvt_i32_f32_e32 v131, v131                               // 0000000073B8: 7F061183
	v_cvt_i32_f32_e32 v132, v132                               // 0000000073BC: 7F081184
	v_cvt_i32_f32_e32 v133, v133                               // 0000000073C0: 7F0A1185
	v_cvt_i32_f32_e32 v134, v134                               // 0000000073C4: 7F0C1186
	v_cvt_i32_f32_e32 v135, v135                               // 0000000073C8: 7F0E1187
	v_cvt_i32_f32_e32 v136, v136                               // 0000000073CC: 7F101188
	v_cvt_i32_f32_e32 v137, v137                               // 0000000073D0: 7F121189
	v_cvt_i32_f32_e32 v138, v138                               // 0000000073D4: 7F14118A
	v_cvt_i32_f32_e32 v139, v139                               // 0000000073D8: 7F16118B
	v_cvt_i32_f32_e32 v140, v140                               // 0000000073DC: 7F18118C
	v_cvt_i32_f32_e32 v141, v141                               // 0000000073E0: 7F1A118D
	v_cvt_i32_f32_e32 v142, v142                               // 0000000073E4: 7F1C118E
	v_cvt_i32_f32_e32 v143, v143                               // 0000000073E8: 7F1E118F
	v_perm_b32 v128, v129, v128, s53                           // 0000000073EC: D1ED0080 00D70181
	v_perm_b32 v128, v130, v128, s54                           // 0000000073F4: D1ED0080 00DB0182
	v_perm_b32 v128, v131, v128, s55                           // 0000000073FC: D1ED0080 00DF0183
	v_perm_b32 v129, v133, v132, s53                           // 000000007404: D1ED0081 00D70985
	v_perm_b32 v129, v134, v129, s54                           // 00000000740C: D1ED0081 00DB0386
	v_perm_b32 v129, v135, v129, s55                           // 000000007414: D1ED0081 00DF0387
	v_perm_b32 v130, v137, v136, s53                           // 00000000741C: D1ED0082 00D71189
	v_perm_b32 v130, v138, v130, s54                           // 000000007424: D1ED0082 00DB058A
	v_perm_b32 v130, v139, v130, s55                           // 00000000742C: D1ED0082 00DF058B
	v_perm_b32 v131, v141, v140, s53                           // 000000007434: D1ED0083 00D7198D
	v_perm_b32 v131, v142, v131, s54                           // 00000000743C: D1ED0083 00DB078E
	v_perm_b32 v131, v143, v131, s55                           // 000000007444: D1ED0083 00DF078F
	ds_write_b32 v13, v128 offset:25088                        // 00000000744C: D81A6200 0000800D
	ds_write_b32 v13, v129 offset:26112                        // 000000007454: D81A6600 0000810D
	ds_write_b32 v13, v130 offset:27136                        // 00000000745C: D81A6A00 0000820D
	ds_write_b32 v13, v131 offset:28160                        // 000000007464: D81A6E00 0000830D
	v_add_f32_e32 v224, v224, v192                             // 00000000746C: 03C181E0
	v_add_f32_e32 v225, v225, v193                             // 000000007470: 03C383E1
	v_add_f32_e32 v226, v226, v194                             // 000000007474: 03C585E2
	v_add_f32_e32 v227, v227, v195                             // 000000007478: 03C787E3
	v_add_f32_e32 v228, v228, v196                             // 00000000747C: 03C989E4
	v_add_f32_e32 v229, v229, v197                             // 000000007480: 03CB8BE5
	v_add_f32_e32 v230, v230, v198                             // 000000007484: 03CD8DE6
	v_add_f32_e32 v231, v231, v199                             // 000000007488: 03CF8FE7
	v_rcp_f32_e32 v58, v62                                     // 00000000748C: 7E74453E
	s_waitcnt lgkmcnt(0)                                       // 000000007490: BF8CC07F
	s_barrier                                                  // 000000007494: BF8A0000
	ds_read_b64 v[128:129], v12 offset:25088                   // 000000007498: D8EC6200 8000000C
	ds_read_b64 v[130:131], v12 offset:25216                   // 0000000074A0: D8EC6280 8200000C
	ds_read_b64 v[132:133], v12 offset:26112                   // 0000000074A8: D8EC6600 8400000C
	ds_read_b64 v[134:135], v12 offset:26240                   // 0000000074B0: D8EC6680 8600000C
	ds_read_b64 v[136:137], v12 offset:27136                   // 0000000074B8: D8EC6A00 8800000C
	ds_read_b64 v[138:139], v12 offset:27264                   // 0000000074C0: D8EC6A80 8A00000C
	ds_read_b64 v[140:141], v12 offset:28160                   // 0000000074C8: D8EC6E00 8C00000C
	ds_read_b64 v[142:143], v12 offset:28288                   // 0000000074D0: D8EC6E80 8E00000C
	s_waitcnt vmcnt(15)                                        // 0000000074D8: BF8C0F7F
	s_waitcnt lgkmcnt(7)                                       // 0000000074DC: BF8CC77F
	v_mfma_i32_16x16x32_i8 v[192:195], a[96:97], v[128:129], 0 // 0000000074E0: D3D700C0 0A030160
	s_waitcnt lgkmcnt(6)                                       // 0000000074E8: BF8CC67F
	v_mfma_i32_16x16x32_i8 v[192:195], a[98:99], v[130:131], v[192:195]// 0000000074EC: D3D700C0 0F030562
	buffer_load_dwordx4 a[80:83], v33, s[20:23], 0 offen offset:1024// 0000000074F4: E05C1400 80855021
	s_waitcnt lgkmcnt(5)                                       // 0000000074FC: BF8CC57F
	v_mfma_i32_16x16x32_i8 v[192:195], a[100:101], v[132:133], v[192:195]// 000000007500: D3D700C0 0F030964
	s_waitcnt lgkmcnt(4)                                       // 000000007508: BF8CC47F
	v_mfma_i32_16x16x32_i8 v[192:195], a[102:103], v[134:135], v[192:195]// 00000000750C: D3D700C0 0F030D66
	s_waitcnt lgkmcnt(3)                                       // 000000007514: BF8CC37F
	v_mfma_i32_16x16x32_i8 v[192:195], a[104:105], v[136:137], v[192:195]// 000000007518: D3D700C0 0F031168
	s_waitcnt lgkmcnt(2)                                       // 000000007520: BF8CC27F
	v_mfma_i32_16x16x32_i8 v[192:195], a[106:107], v[138:139], v[192:195]// 000000007524: D3D700C0 0F03156A
	buffer_load_dwordx4 a[84:87], v34, s[20:23], 0 offen offset:1024// 00000000752C: E05C1400 80855422
	s_waitcnt lgkmcnt(1)                                       // 000000007534: BF8CC17F
	v_mfma_i32_16x16x32_i8 v[192:195], a[108:109], v[140:141], v[192:195]// 000000007538: D3D700C0 0F03196C
	s_waitcnt lgkmcnt(0)                                       // 000000007540: BF8CC07F
	v_mfma_i32_16x16x32_i8 v[192:195], a[110:111], v[142:143], v[192:195]// 000000007544: D3D700C0 0F031D6E
	v_mfma_i32_16x16x32_i8 v[196:199], a[112:113], v[128:129], 0// 00000000754C: D3D700C4 0A030170
	v_mfma_i32_16x16x32_i8 v[196:199], a[114:115], v[130:131], v[196:199]// 000000007554: D3D700C4 0F130572
	buffer_load_dwordx4 a[88:91], v35, s[20:23], 0 offen offset:1024// 00000000755C: E05C1400 80855823
	v_mfma_i32_16x16x32_i8 v[196:199], a[116:117], v[132:133], v[196:199]// 000000007564: D3D700C4 0F130974
	v_mfma_i32_16x16x32_i8 v[196:199], a[118:119], v[134:135], v[196:199]// 00000000756C: D3D700C4 0F130D76
	v_mfma_i32_16x16x32_i8 v[196:199], a[120:121], v[136:137], v[196:199]// 000000007574: D3D700C4 0F131178
	v_mfma_i32_16x16x32_i8 v[196:199], a[122:123], v[138:139], v[196:199]// 00000000757C: D3D700C4 0F13157A
	buffer_load_dwordx4 a[92:95], v36, s[20:23], 0 offen offset:1024// 000000007584: E05C1400 80855C24
	v_mfma_i32_16x16x32_i8 v[196:199], a[124:125], v[140:141], v[196:199]// 00000000758C: D3D700C4 0F13197C
	s_lshr_b32 s57, s70, 4                                     // 000000007594: 8F398446
	s_add_u32 s57, 48, s57                                     // 000000007598: 803939B0
	v_mfma_i32_16x16x32_i8 v[196:199], a[126:127], v[142:143], v[196:199]// 00000000759C: D3D700C4 0F131D7E
	s_cmp_ge_u32 s57, s73                                      // 0000000075A4: BF094939
	s_cselect_b32 s56, 0, s56                                  // 0000000075A8: 85383880
	v_add_u32_e32 v1, s56, v1                                  // 0000000075AC: 68020238
	s_addk_i32 s70, 0x100                                      // 0000000075B0: B7460100
	s_cmp_lt_i32 s70, s71                                      // 0000000075B4: BF044746
	s_cbranch_scc0 label_14F0                                  // 0000000075B8: BF840001
	s_branch label_0FF3                                        // 0000000075BC: BF82FB03

00000000000075c0 <label_14F0>:
	s_nop 0                                                    // 0000000075C0: BF800000
	s_nop 0                                                    // 0000000075C4: BF800000
	s_branch label_19F0                                        // 0000000075C8: BF8204FD

00000000000075cc <label_14F3>:
	s_waitcnt vmcnt(8) lgkmcnt(0)                              // 0000000075CC: BF8C0078
	v_mul_u32_u24_dpp v41, v20, v68 row_newbcast:0 row_mask:0xf bank_mask:0xf// 0000000075D0: 105288FA FF015014
	v_mul_u32_u24_dpp v42, v20, v68 row_newbcast:4 row_mask:0xf bank_mask:0xf// 0000000075D8: 105488FA FF015414
	v_mul_u32_u24_dpp v43, v20, v68 row_newbcast:8 row_mask:0xf bank_mask:0xf// 0000000075E0: 105688FA FF015814
	v_mul_u32_u24_dpp v44, v20, v68 row_newbcast:12 row_mask:0xf bank_mask:0xf// 0000000075E8: 105888FA FF015C14
	v_add_u32_e32 v29, v41, v6                                 // 0000000075F0: 683A0D29
	v_add_u32_e32 v30, v42, v6                                 // 0000000075F4: 683C0D2A
	v_add_u32_e32 v31, v43, v6                                 // 0000000075F8: 683E0D2B
	v_add_u32_e32 v32, v44, v6                                 // 0000000075FC: 68400D2C
	v_mul_u32_u24_dpp v41, v20, v78 quad_perm:[0,0,0,0] row_mask:0xf bank_mask:0xf// 000000007600: 10529CFA FF000014
	v_add_u32_e32 v3, v41, v74                                 // 000000007608: 68069529
	v_mul_u32_u24_dpp v41, v20, v78 quad_perm:[0,0,0,0] row_mask:0xf bank_mask:0xf// 00000000760C: 10529CFA FF000014
	v_add_u32_e32 v71, v41, v75                                // 000000007614: 688E9729
	v_mfma_i32_16x16x32_i8 v[128:131], a[0:1], v[96:97], 0     // 000000007618: D3D70080 0A02C100
	buffer_load_dwordx4 a[32:35], v29, s[16:19], 0 offen       // 000000007620: E05C1000 8084201D
	v_mfma_i32_16x16x32_i8 v[128:131], a[2:3], v[98:99], v[128:131]// 000000007628: D3D70080 0E02C502
	v_mfma_i32_16x16x32_i8 v[128:131], a[4:5], v[100:101], v[128:131]// 000000007630: D3D70080 0E02C904
	buffer_load_dword v19, v1, s[24:27], 0 offen               // 000000007638: E0501000 80061301
	v_mfma_i32_16x16x32_i8 v[128:131], a[6:7], v[102:103], v[128:131]// 000000007640: D3D70080 0E02CD06
	v_mfma_i32_16x16x32_i8 v[132:135], a[8:9], v[96:97], 0     // 000000007648: D3D70084 0A02C108
	buffer_load_dwordx4 a[36:39], v29, s[16:19], 0 offen offset:1024// 000000007650: E05C1400 8084241D
	v_mfma_i32_16x16x32_i8 v[132:135], a[10:11], v[98:99], v[132:135]// 000000007658: D3D70084 0E12C50A
	v_mfma_i32_16x16x32_i8 v[132:135], a[12:13], v[100:101], v[132:135]// 000000007660: D3D70084 0E12C90C
	v_mfma_i32_16x16x32_i8 v[132:135], a[14:15], v[102:103], v[132:135]// 000000007668: D3D70084 0E12CD0E
	v_mfma_i32_16x16x32_i8 v[136:139], a[16:17], v[96:97], 0   // 000000007670: D3D70088 0A02C110
	buffer_load_dwordx4 a[40:43], v30, s[16:19], 0 offen       // 000000007678: E05C1000 8084281E
	v_mfma_i32_16x16x32_i8 v[136:139], a[18:19], v[98:99], v[136:139]// 000000007680: D3D70088 0E22C512
	v_mfma_i32_16x16x32_i8 v[136:139], a[20:21], v[100:101], v[136:139]// 000000007688: D3D70088 0E22C914
	v_mfma_i32_16x16x32_i8 v[136:139], a[22:23], v[102:103], v[136:139]// 000000007690: D3D70088 0E22CD16
	v_mfma_i32_16x16x32_i8 v[140:143], a[24:25], v[96:97], 0   // 000000007698: D3D7008C 0A02C118
	buffer_load_dwordx4 a[44:47], v30, s[16:19], 0 offen offset:1024// 0000000076A0: E05C1400 80842C1E
	v_mfma_i32_16x16x32_i8 v[140:143], a[26:27], v[98:99], v[140:143]// 0000000076A8: D3D7008C 0E32C51A
	v_mfma_i32_16x16x32_i8 v[140:143], a[28:29], v[100:101], v[140:143]// 0000000076B0: D3D7008C 0E32C91C
	v_mfma_i32_16x16x32_i8 v[140:143], a[30:31], v[102:103], v[140:143]// 0000000076B8: D3D7008C 0E32CD1E
	buffer_load_dword v53, v3, s[32:35], 0 offen               // 0000000076C0: E0501000 80083503
	v_mov_b32_dpp v41, v52 row_shr:4 row_mask:0xf bank_mask:0xf// 0000000076C8: 7E5202FA FF011434
	v_mov_b32_dpp v42, v52 row_shl:4 row_mask:0xf bank_mask:0xf// 0000000076D0: 7E5402FA FF010434
	v_cndmask_b32_e64 v248, v52, v41, s[44:45]                 // 0000000076D8: D10000F8 00B25334
	v_cndmask_b32_e64 v249, v42, v52, s[44:45]                 // 0000000076E0: D10000F9 00B2692A
	v_mov_b32_dpp v41, v248 row_shr:8 row_mask:0xf bank_mask:0xf// 0000000076E8: 7E5202FA FF0118F8
	v_mov_b32_dpp v42, v248 row_shl:8 row_mask:0xf bank_mask:0xf// 0000000076F0: 7E5402FA FF0108F8
	v_mov_b32_dpp v43, v249 row_shr:8 row_mask:0xf bank_mask:0xf// 0000000076F8: 7E5602FA FF0118F9
	v_mov_b32_dpp v44, v249 row_shl:8 row_mask:0xf bank_mask:0xf// 000000007700: 7E5802FA FF0108F9
	v_mov_b32_e32 v45, v248                                    // 000000007708: 7E5A03F8
	v_mov_b32_e32 v46, v249                                    // 00000000770C: 7E5C03F9
	v_cndmask_b32_e64 v248, v45, v41, s[42:43]                 // 000000007710: D10000F8 00AA532D
	v_cndmask_b32_e64 v250, v45, v42, s[78:79]                 // 000000007718: D10000FA 013A552D
	v_cndmask_b32_e64 v249, v46, v43, s[42:43]                 // 000000007720: D10000F9 00AA572E
	v_cndmask_b32_e64 v251, v46, v44, s[78:79]                 // 000000007728: D10000FB 013A592E
	v_mov_b32_dpp v41, v72 row_shr:4 row_mask:0xf bank_mask:0xf// 000000007730: 7E5202FA FF011448
	v_mov_b32_dpp v42, v72 row_shl:4 row_mask:0xf bank_mask:0xf// 000000007738: 7E5402FA FF010448
	v_cndmask_b32_e64 v252, v72, v41, s[44:45]                 // 000000007740: D10000FC 00B25348
	v_cndmask_b32_e64 v253, v42, v72, s[44:45]                 // 000000007748: D10000FD 00B2912A
	v_mov_b32_dpp v41, v252 row_shr:8 row_mask:0xf bank_mask:0xf// 000000007750: 7E5202FA FF0118FC
	v_mov_b32_dpp v42, v252 row_shl:8 row_mask:0xf bank_mask:0xf// 000000007758: 7E5402FA FF0108FC
	v_mov_b32_dpp v43, v253 row_shr:8 row_mask:0xf bank_mask:0xf// 000000007760: 7E5602FA FF0118FD
	v_mov_b32_dpp v44, v253 row_shl:8 row_mask:0xf bank_mask:0xf// 000000007768: 7E5802FA FF0108FD
	v_mov_b32_e32 v45, v252                                    // 000000007770: 7E5A03FC
	v_mov_b32_e32 v46, v253                                    // 000000007774: 7E5C03FD
	v_cndmask_b32_e64 v252, v45, v41, s[42:43]                 // 000000007778: D10000FC 00AA532D
	v_cndmask_b32_e64 v254, v45, v42, s[78:79]                 // 000000007780: D10000FE 013A552D
	v_cndmask_b32_e64 v253, v46, v43, s[42:43]                 // 000000007788: D10000FD 00AA572E
	v_cndmask_b32_e64 v255, v46, v44, s[78:79]                 // 000000007790: D10000FF 013A592E
	buffer_load_dword v73, v71, s[36:39], 0 offen              // 000000007798: E0501000 80094947
	v_cvt_f32_i32_e32 v128, v128                               // 0000000077A0: 7F000B80
	v_cvt_f32_i32_e32 v129, v129                               // 0000000077A4: 7F020B81
	v_cvt_f32_i32_e32 v130, v130                               // 0000000077A8: 7F040B82
	v_cvt_f32_i32_e32 v131, v131                               // 0000000077AC: 7F060B83
	v_cvt_f32_i32_e32 v132, v132                               // 0000000077B0: 7F080B84
	v_cvt_f32_i32_e32 v133, v133                               // 0000000077B4: 7F0A0B85
	v_cvt_f32_i32_e32 v134, v134                               // 0000000077B8: 7F0C0B86
	v_cvt_f32_i32_e32 v135, v135                               // 0000000077BC: 7F0E0B87
	v_cvt_f32_i32_e32 v136, v136                               // 0000000077C0: 7F100B88
	v_cvt_f32_i32_e32 v137, v137                               // 0000000077C4: 7F120B89
	v_cvt_f32_i32_e32 v138, v138                               // 0000000077C8: 7F140B8A
	v_cvt_f32_i32_e32 v139, v139                               // 0000000077CC: 7F160B8B
	v_cvt_f32_i32_e32 v140, v140                               // 0000000077D0: 7F180B8C
	v_cvt_f32_i32_e32 v141, v141                               // 0000000077D4: 7F1A0B8D
	v_cvt_f32_i32_e32 v142, v142                               // 0000000077D8: 7F1C0B8E
	v_cvt_f32_i32_e32 v143, v143                               // 0000000077DC: 7F1E0B8F
	v_mul_f32_e32 v128, v54, v128                              // 0000000077E0: 0B010136
	v_mul_f32_e32 v129, v54, v129                              // 0000000077E4: 0B030336
	v_mul_f32_e32 v130, v54, v130                              // 0000000077E8: 0B050536
	v_mul_f32_e32 v131, v54, v131                              // 0000000077EC: 0B070736
	v_mul_f32_e32 v132, v54, v132                              // 0000000077F0: 0B090936
	v_mul_f32_e32 v133, v54, v133                              // 0000000077F4: 0B0B0B36
	v_mul_f32_e32 v134, v54, v134                              // 0000000077F8: 0B0D0D36
	v_mul_f32_e32 v135, v54, v135                              // 0000000077FC: 0B0F0F36
	v_mul_f32_e32 v136, v54, v136                              // 000000007800: 0B111136
	v_mul_f32_e32 v137, v54, v137                              // 000000007804: 0B131336
	v_mul_f32_e32 v138, v54, v138                              // 000000007808: 0B151536
	v_mul_f32_e32 v139, v54, v139                              // 00000000780C: 0B171736
	v_mul_f32_e32 v140, v54, v140                              // 000000007810: 0B191936
	v_mul_f32_e32 v141, v54, v141                              // 000000007814: 0B1B1B36
	v_mul_f32_e32 v142, v54, v142                              // 000000007818: 0B1D1D36
	v_mul_f32_e32 v143, v54, v143                              // 00000000781C: 0B1F1F36
	buffer_load_dwordx4 a[48:51], v31, s[16:19], 0 offen       // 000000007820: E05C1000 8084301F
	v_mul_f32_dpp v128, v248, v128 quad_perm:[0,0,0,0] row_mask:0xf bank_mask:0xf// 000000007828: 0B0100FA FF0000F8
	v_mul_f32_dpp v129, v248, v129 quad_perm:[1,1,1,1] row_mask:0xf bank_mask:0xf// 000000007830: 0B0302FA FF0055F8
	v_mul_f32_dpp v130, v248, v130 quad_perm:[2,2,2,2] row_mask:0xf bank_mask:0xf// 000000007838: 0B0504FA FF00AAF8
	v_mul_f32_dpp v131, v248, v131 quad_perm:[3,3,3,3] row_mask:0xf bank_mask:0xf// 000000007840: 0B0706FA FF00FFF8
	v_mul_f32_dpp v132, v249, v132 quad_perm:[0,0,0,0] row_mask:0xf bank_mask:0xf// 000000007848: 0B0908FA FF0000F9
	v_mul_f32_dpp v133, v249, v133 quad_perm:[1,1,1,1] row_mask:0xf bank_mask:0xf// 000000007850: 0B0B0AFA FF0055F9
	v_mul_f32_dpp v134, v249, v134 quad_perm:[2,2,2,2] row_mask:0xf bank_mask:0xf// 000000007858: 0B0D0CFA FF00AAF9
	v_mul_f32_dpp v135, v249, v135 quad_perm:[3,3,3,3] row_mask:0xf bank_mask:0xf// 000000007860: 0B0F0EFA FF00FFF9
	v_mul_f32_dpp v136, v250, v136 quad_perm:[0,0,0,0] row_mask:0xf bank_mask:0xf// 000000007868: 0B1110FA FF0000FA
	v_mul_f32_dpp v137, v250, v137 quad_perm:[1,1,1,1] row_mask:0xf bank_mask:0xf// 000000007870: 0B1312FA FF0055FA
	v_mul_f32_dpp v138, v250, v138 quad_perm:[2,2,2,2] row_mask:0xf bank_mask:0xf// 000000007878: 0B1514FA FF00AAFA
	v_mul_f32_dpp v139, v250, v139 quad_perm:[3,3,3,3] row_mask:0xf bank_mask:0xf// 000000007880: 0B1716FA FF00FFFA
	v_mul_f32_dpp v140, v251, v140 quad_perm:[0,0,0,0] row_mask:0xf bank_mask:0xf// 000000007888: 0B1918FA FF0000FB
	v_mul_f32_dpp v141, v251, v141 quad_perm:[1,1,1,1] row_mask:0xf bank_mask:0xf// 000000007890: 0B1B1AFA FF0055FB
	v_mul_f32_dpp v142, v251, v142 quad_perm:[2,2,2,2] row_mask:0xf bank_mask:0xf// 000000007898: 0B1D1CFA FF00AAFB
	v_mul_f32_dpp v143, v251, v143 quad_perm:[3,3,3,3] row_mask:0xf bank_mask:0xf// 0000000078A0: 0B1F1EFA FF00FFFB
	buffer_load_dwordx4 a[52:55], v31, s[16:19], 0 offen offset:1024// 0000000078A8: E05C1400 8084341F
	v_mov_b32_e32 v62, v128                                    // 0000000078B0: 7E7C0380
	v_max3_f32 v62, v128, v129, v62                            // 0000000078B4: D1D3003E 04FB0380
	v_max3_f32 v62, v130, v131, v62                            // 0000000078BC: D1D3003E 04FB0782
	v_max3_f32 v62, v132, v133, v62                            // 0000000078C4: D1D3003E 04FB0B84
	v_max3_f32 v62, v134, v135, v62                            // 0000000078CC: D1D3003E 04FB0F86
	v_max3_f32 v62, v136, v137, v62                            // 0000000078D4: D1D3003E 04FB1388
	v_max3_f32 v62, v138, v139, v62                            // 0000000078DC: D1D3003E 04FB178A
	v_max3_f32 v62, v140, v141, v62                            // 0000000078E4: D1D3003E 04FB1B8C
	v_max3_f32 v62, v142, v143, v62                            // 0000000078EC: D1D3003E 04FB1F8E
	ds_write_b32 v11, v62 offset:16896                         // 0000000078F4: D81A4200 00003E0B
	buffer_load_dwordx4 a[56:59], v32, s[16:19], 0 offen       // 0000000078FC: E05C1000 80843820
	v_mul_u32_u24_dpp v41, v20, v68 row_newbcast:1 row_mask:0xf bank_mask:0xf// 000000007904: 105288FA FF015114
	v_mul_u32_u24_dpp v42, v20, v68 row_newbcast:5 row_mask:0xf bank_mask:0xf// 00000000790C: 105488FA FF015514
	v_mul_u32_u24_dpp v43, v20, v68 row_newbcast:9 row_mask:0xf bank_mask:0xf// 000000007914: 105688FA FF015914
	v_mul_u32_u24_dpp v44, v20, v68 row_newbcast:13 row_mask:0xf bank_mask:0xf// 00000000791C: 105888FA FF015D14
	v_add_u32_e32 v37, v41, v7                                 // 000000007924: 684A0F29
	v_add_u32_e32 v38, v42, v7                                 // 000000007928: 684C0F2A
	v_add_u32_e32 v39, v43, v7                                 // 00000000792C: 684E0F2B
	v_add_u32_e32 v40, v44, v7                                 // 000000007930: 68500F2C
	v_mul_f32_e32 v224, v63, v224                              // 000000007934: 0BC1C13F
	v_mul_f32_e32 v225, v63, v225                              // 000000007938: 0BC3C33F
	v_mul_f32_e32 v226, v63, v226                              // 00000000793C: 0BC5C53F
	v_mul_f32_e32 v227, v63, v227                              // 000000007940: 0BC7C73F
	v_mul_f32_e32 v228, v63, v228                              // 000000007944: 0BC9C93F
	v_mul_f32_e32 v229, v63, v229                              // 000000007948: 0BCBCB3F
	v_mul_f32_e32 v230, v63, v230                              // 00000000794C: 0BCDCD3F
	v_mul_f32_e32 v231, v63, v231                              // 000000007950: 0BCFCF3F
	s_waitcnt lgkmcnt(0)                                       // 000000007954: BF8CC07F
	s_barrier                                                  // 000000007958: BF8A0000
	ds_read_b32 v80, v10 offset:16896                          // 00000000795C: D86C4200 5000000A
	ds_read_b32 v81, v10 offset:16960                          // 000000007964: D86C4240 5100000A
	ds_read_b32 v82, v10 offset:17024                          // 00000000796C: D86C4280 5200000A
	ds_read_b32 v83, v10 offset:17088                          // 000000007974: D86C42C0 5300000A
	ds_read_b32 v84, v10 offset:17152                          // 00000000797C: D86C4300 5400000A
	ds_read_b32 v85, v10 offset:17216                          // 000000007984: D86C4340 5500000A
	ds_read_b32 v86, v10 offset:17280                          // 00000000798C: D86C4380 5600000A
	ds_read_b32 v87, v10 offset:17344                          // 000000007994: D86C43C0 5700000A
	ds_read_b32 v88, v10 offset:17408                          // 00000000799C: D86C4400 5800000A
	ds_read_b32 v89, v10 offset:17472                          // 0000000079A4: D86C4440 5900000A
	ds_read_b32 v90, v10 offset:17536                          // 0000000079AC: D86C4480 5A00000A
	ds_read_b32 v91, v10 offset:17600                          // 0000000079B4: D86C44C0 5B00000A
	ds_read_b32 v92, v10 offset:17664                          // 0000000079BC: D86C4500 5C00000A
	ds_read_b32 v93, v10 offset:17728                          // 0000000079C4: D86C4540 5D00000A
	ds_read_b32 v94, v10 offset:17792                          // 0000000079CC: D86C4580 5E00000A
	ds_read_b32 v95, v10 offset:17856                          // 0000000079D4: D86C45C0 5F00000A
	buffer_load_dwordx4 a[60:63], v32, s[16:19], 0 offen offset:1024// 0000000079DC: E05C1400 80843C20
	v_cvt_f32_i32_e32 v192, v192                               // 0000000079E4: 7F800BC0
	v_cvt_f32_i32_e32 v193, v193                               // 0000000079E8: 7F820BC1
	v_cvt_f32_i32_e32 v194, v194                               // 0000000079EC: 7F840BC2
	v_cvt_f32_i32_e32 v195, v195                               // 0000000079F0: 7F860BC3
	v_cvt_f32_i32_e32 v196, v196                               // 0000000079F4: 7F880BC4
	v_cvt_f32_i32_e32 v197, v197                               // 0000000079F8: 7F8A0BC5
	v_cvt_f32_i32_e32 v198, v198                               // 0000000079FC: 7F8C0BC6
	v_cvt_f32_i32_e32 v199, v199                               // 000000007A00: 7F8E0BC7
	v_mul_f32_e32 v192, v58, v192                              // 000000007A04: 0B81813A
	v_mul_f32_e32 v193, v58, v193                              // 000000007A08: 0B83833A
	v_mul_f32_e32 v194, v58, v194                              // 000000007A0C: 0B85853A
	v_mul_f32_e32 v195, v58, v195                              // 000000007A10: 0B87873A
	v_mul_f32_e32 v196, v58, v196                              // 000000007A14: 0B89893A
	v_mul_f32_e32 v197, v58, v197                              // 000000007A18: 0B8B8B3A
	v_mul_f32_e32 v198, v58, v198                              // 000000007A1C: 0B8D8D3A
	v_mul_f32_e32 v199, v58, v199                              // 000000007A20: 0B8F8F3A
	s_waitcnt lgkmcnt(0)                                       // 000000007A24: BF8CC07F
	v_max3_f32 v62, v80, v81, v62                              // 000000007A28: D1D3003E 04FAA350
	v_max3_f32 v62, v82, v83, v62                              // 000000007A30: D1D3003E 04FAA752
	v_max3_f32 v62, v84, v85, v62                              // 000000007A38: D1D3003E 04FAAB54
	v_max3_f32 v62, v86, v87, v62                              // 000000007A40: D1D3003E 04FAAF56
	v_max3_f32 v62, v88, v89, v62                              // 000000007A48: D1D3003E 04FAB358
	v_max3_f32 v62, v90, v91, v62                              // 000000007A50: D1D3003E 04FAB75A
	v_max3_f32 v62, v92, v93, v62                              // 000000007A58: D1D3003E 04FABB5C
	v_max3_f32 v62, v94, v95, v62                              // 000000007A60: D1D3003E 04FABF5E
	buffer_load_dwordx4 a[96:99], v37, s[20:23], 0 offen       // 000000007A68: E05C1000 80856025
	v_mov_b32_e32 v41, 0xff800000                              // 000000007A70: 7E5202FF FF800000
	v_cmp_eq_u32_e64 s[40:41], v41, v14                        // 000000007A78: D0CA0028 00021D29
	s_nop 1                                                    // 000000007A80: BF800001
	v_max_f32_e32 v18, v62, v14                                // 000000007A84: 16241D3E
	v_mul_f32_e32 v67, s64, v18                                // 000000007A88: 0A862440
	v_fma_f32 v128, v128, s64, -v67                            // 000000007A8C: D1CB0080 850C8180
	v_fma_f32 v129, v129, s64, -v67                            // 000000007A94: D1CB0081 850C8181
	v_fma_f32 v130, v130, s64, -v67                            // 000000007A9C: D1CB0082 850C8182
	v_fma_f32 v131, v131, s64, -v67                            // 000000007AA4: D1CB0083 850C8183
	v_fma_f32 v132, v132, s64, -v67                            // 000000007AAC: D1CB0084 850C8184
	v_fma_f32 v133, v133, s64, -v67                            // 000000007AB4: D1CB0085 850C8185
	v_fma_f32 v134, v134, s64, -v67                            // 000000007ABC: D1CB0086 850C8186
	v_fma_f32 v135, v135, s64, -v67                            // 000000007AC4: D1CB0087 850C8187
	v_fma_f32 v136, v136, s64, -v67                            // 000000007ACC: D1CB0088 850C8188
	v_fma_f32 v137, v137, s64, -v67                            // 000000007AD4: D1CB0089 850C8189
	v_fma_f32 v138, v138, s64, -v67                            // 000000007ADC: D1CB008A 850C818A
	v_fma_f32 v139, v139, s64, -v67                            // 000000007AE4: D1CB008B 850C818B
	v_fma_f32 v140, v140, s64, -v67                            // 000000007AEC: D1CB008C 850C818C
	v_fma_f32 v141, v141, s64, -v67                            // 000000007AF4: D1CB008D 850C818D
	v_fma_f32 v142, v142, s64, -v67                            // 000000007AFC: D1CB008E 850C818E
	v_fma_f32 v143, v143, s64, -v67                            // 000000007B04: D1CB008F 850C818F
	buffer_load_dwordx4 a[100:103], v38, s[20:23], 0 offen     // 000000007B0C: E05C1000 80856426
	v_exp_f32_e32 v128, v128                                   // 000000007B14: 7F004180
	v_exp_f32_e32 v129, v129                                   // 000000007B18: 7F024181
	v_exp_f32_e32 v130, v130                                   // 000000007B1C: 7F044182
	v_exp_f32_e32 v131, v131                                   // 000000007B20: 7F064183
	v_exp_f32_e32 v132, v132                                   // 000000007B24: 7F084184
	v_exp_f32_e32 v133, v133                                   // 000000007B28: 7F0A4185
	v_exp_f32_e32 v134, v134                                   // 000000007B2C: 7F0C4186
	v_exp_f32_e32 v135, v135                                   // 000000007B30: 7F0E4187
	v_exp_f32_e32 v136, v136                                   // 000000007B34: 7F104188
	v_exp_f32_e32 v137, v137                                   // 000000007B38: 7F124189
	v_exp_f32_e32 v138, v138                                   // 000000007B3C: 7F14418A
	v_exp_f32_e32 v139, v139                                   // 000000007B40: 7F16418B
	v_exp_f32_e32 v140, v140                                   // 000000007B44: 7F18418C
	v_exp_f32_e32 v141, v141                                   // 000000007B48: 7F1A418D
	v_exp_f32_e32 v142, v142                                   // 000000007B4C: 7F1C418E
	v_exp_f32_e32 v143, v143                                   // 000000007B50: 7F1E418F
	buffer_load_dwordx4 a[104:107], v39, s[20:23], 0 offen     // 000000007B54: E05C1000 80856827
	v_mul_f32_dpp v240, v252, v128 quad_perm:[0,0,0,0] row_mask:0xf bank_mask:0xf// 000000007B5C: 0BE100FA FF0000FC
	v_mul_f32_dpp v241, v252, v129 quad_perm:[1,1,1,1] row_mask:0xf bank_mask:0xf// 000000007B64: 0BE302FA FF0055FC
	v_mul_f32_dpp v242, v252, v130 quad_perm:[2,2,2,2] row_mask:0xf bank_mask:0xf// 000000007B6C: 0BE504FA FF00AAFC
	v_mul_f32_dpp v243, v252, v131 quad_perm:[3,3,3,3] row_mask:0xf bank_mask:0xf// 000000007B74: 0BE706FA FF00FFFC
	v_mul_f32_dpp v244, v253, v132 quad_perm:[0,0,0,0] row_mask:0xf bank_mask:0xf// 000000007B7C: 0BE908FA FF0000FD
	v_mul_f32_dpp v245, v253, v133 quad_perm:[1,1,1,1] row_mask:0xf bank_mask:0xf// 000000007B84: 0BEB0AFA FF0055FD
	v_mul_f32_dpp v246, v253, v134 quad_perm:[2,2,2,2] row_mask:0xf bank_mask:0xf// 000000007B8C: 0BED0CFA FF00AAFD
	v_mul_f32_dpp v247, v253, v135 quad_perm:[3,3,3,3] row_mask:0xf bank_mask:0xf// 000000007B94: 0BEF0EFA FF00FFFD
	v_mul_f32_dpp v248, v254, v136 quad_perm:[0,0,0,0] row_mask:0xf bank_mask:0xf// 000000007B9C: 0BF110FA FF0000FE
	v_mul_f32_dpp v249, v254, v137 quad_perm:[1,1,1,1] row_mask:0xf bank_mask:0xf// 000000007BA4: 0BF312FA FF0055FE
	v_mul_f32_dpp v250, v254, v138 quad_perm:[2,2,2,2] row_mask:0xf bank_mask:0xf// 000000007BAC: 0BF514FA FF00AAFE
	v_mul_f32_dpp v251, v254, v139 quad_perm:[3,3,3,3] row_mask:0xf bank_mask:0xf// 000000007BB4: 0BF716FA FF00FFFE
	v_mul_f32_dpp v252, v255, v140 quad_perm:[0,0,0,0] row_mask:0xf bank_mask:0xf// 000000007BBC: 0BF918FA FF0000FF
	v_mul_f32_dpp v253, v255, v141 quad_perm:[1,1,1,1] row_mask:0xf bank_mask:0xf// 000000007BC4: 0BFB1AFA FF0055FF
	v_mul_f32_dpp v254, v255, v142 quad_perm:[2,2,2,2] row_mask:0xf bank_mask:0xf// 000000007BCC: 0BFD1CFA FF00AAFF
	v_mul_f32_dpp v255, v255, v143 quad_perm:[3,3,3,3] row_mask:0xf bank_mask:0xf// 000000007BD4: 0BFF1EFA FF00FFFF
	v_mov_b32_e32 v62, 0x358637bd                              // 000000007BDC: 7E7C02FF 358637BD
	v_max3_f32 v62, |v240|, |v241|, v62                        // 000000007BE4: D1D3033E 04FBE3F0
	v_max3_f32 v62, |v242|, |v243|, v62                        // 000000007BEC: D1D3033E 04FBE7F2
	v_max3_f32 v62, |v244|, |v245|, v62                        // 000000007BF4: D1D3033E 04FBEBF4
	v_max3_f32 v62, |v246|, |v247|, v62                        // 000000007BFC: D1D3033E 04FBEFF6
	v_max3_f32 v62, |v248|, |v249|, v62                        // 000000007C04: D1D3033E 04FBF3F8
	v_max3_f32 v62, |v250|, |v251|, v62                        // 000000007C0C: D1D3033E 04FBF7FA
	v_max3_f32 v62, |v252|, |v253|, v62                        // 000000007C14: D1D3033E 04FBFBFC
	v_max3_f32 v62, |v254|, |v255|, v62                        // 000000007C1C: D1D3033E 04FBFFFE
	buffer_load_dwordx4 a[108:111], v40, s[20:23], 0 offen     // 000000007C24: E05C1000 80856C28
	ds_write_b32 v11, v62 offset:20992                         // 000000007C2C: D81A5200 00003E0B
	v_sub_f32_e32 v63, v14, v18                                // 000000007C34: 047E250E
	v_cndmask_b32_e64 v63, v63, 0, s[40:41]                    // 000000007C38: D100003F 00A1013F
	v_mov_b32_e32 v14, v18                                     // 000000007C40: 7E1C0312
	v_mul_f32_e32 v63, s64, v63                                // 000000007C44: 0A7E7E40
	v_exp_f32_e32 v63, v63                                     // 000000007C48: 7E7E413F
	s_waitcnt lgkmcnt(0)                                       // 000000007C4C: BF8CC07F
	s_barrier                                                  // 000000007C50: BF8A0000
	ds_read_b32 v80, v10 offset:20992                          // 000000007C54: D86C5200 5000000A
	ds_read_b32 v81, v10 offset:21056                          // 000000007C5C: D86C5240 5100000A
	ds_read_b32 v82, v10 offset:21120                          // 000000007C64: D86C5280 5200000A
	ds_read_b32 v83, v10 offset:21184                          // 000000007C6C: D86C52C0 5300000A
	ds_read_b32 v84, v10 offset:21248                          // 000000007C74: D86C5300 5400000A
	ds_read_b32 v85, v10 offset:21312                          // 000000007C7C: D86C5340 5500000A
	ds_read_b32 v86, v10 offset:21376                          // 000000007C84: D86C5380 5600000A
	ds_read_b32 v87, v10 offset:21440                          // 000000007C8C: D86C53C0 5700000A
	ds_read_b32 v88, v10 offset:21504                          // 000000007C94: D86C5400 5800000A
	ds_read_b32 v89, v10 offset:21568                          // 000000007C9C: D86C5440 5900000A
	ds_read_b32 v90, v10 offset:21632                          // 000000007CA4: D86C5480 5A00000A
	ds_read_b32 v91, v10 offset:21696                          // 000000007CAC: D86C54C0 5B00000A
	ds_read_b32 v92, v10 offset:21760                          // 000000007CB4: D86C5500 5C00000A
	ds_read_b32 v93, v10 offset:21824                          // 000000007CBC: D86C5540 5D00000A
	ds_read_b32 v94, v10 offset:21888                          // 000000007CC4: D86C5580 5E00000A
	ds_read_b32 v95, v10 offset:21952                          // 000000007CCC: D86C55C0 5F00000A
	v_mul_f32_e32 v47, v63, v47                                // 000000007CD4: 0A5E5F3F
	v_mov_b32_e32 v18, v128                                    // 000000007CD8: 7E240380
	v_add_f32_e32 v18, v129, v18                               // 000000007CDC: 02242581
	v_add_f32_e32 v18, v130, v18                               // 000000007CE0: 02242582
	v_add_f32_e32 v18, v131, v18                               // 000000007CE4: 02242583
	v_add_f32_e32 v18, v132, v18                               // 000000007CE8: 02242584
	v_add_f32_e32 v18, v133, v18                               // 000000007CEC: 02242585
	v_add_f32_e32 v18, v134, v18                               // 000000007CF0: 02242586
	v_add_f32_e32 v18, v135, v18                               // 000000007CF4: 02242587
	v_add_f32_e32 v18, v136, v18                               // 000000007CF8: 02242588
	v_add_f32_e32 v18, v137, v18                               // 000000007CFC: 02242589
	v_add_f32_e32 v18, v138, v18                               // 000000007D00: 0224258A
	v_add_f32_e32 v18, v139, v18                               // 000000007D04: 0224258B
	v_add_f32_e32 v18, v140, v18                               // 000000007D08: 0224258C
	v_add_f32_e32 v18, v141, v18                               // 000000007D0C: 0224258D
	v_add_f32_e32 v18, v142, v18                               // 000000007D10: 0224258E
	v_add_f32_e32 v18, v143, v18                               // 000000007D14: 0224258F
	v_add_f32_e32 v47, v18, v47                                // 000000007D18: 025E5F12
	s_waitcnt lgkmcnt(0)                                       // 000000007D1C: BF8CC07F
	v_max3_f32 v62, |v80|, |v81|, v62                          // 000000007D20: D1D3033E 04FAA350
	v_max3_f32 v62, |v82|, |v83|, v62                          // 000000007D28: D1D3033E 04FAA752
	v_max3_f32 v62, |v84|, |v85|, v62                          // 000000007D30: D1D3033E 04FAAB54
	v_max3_f32 v62, |v86|, |v87|, v62                          // 000000007D38: D1D3033E 04FAAF56
	v_max3_f32 v62, |v88|, |v89|, v62                          // 000000007D40: D1D3033E 04FAB358
	v_max3_f32 v62, |v90|, |v91|, v62                          // 000000007D48: D1D3033E 04FAB75A
	v_max3_f32 v62, |v92|, |v93|, v62                          // 000000007D50: D1D3033E 04FABB5C
	v_max3_f32 v62, |v94|, |v95|, v62                          // 000000007D58: D1D3033E 04FABF5E
	s_nop 2                                                    // 000000007D60: BF800002
	v_rcp_f32_e32 v62, v62                                     // 000000007D64: 7E7C453E
	s_nop 1                                                    // 000000007D68: BF800001
	v_mul_f32_e32 v62, 0x42fe0000, v62                         // 000000007D6C: 0A7C7CFF 42FE0000
	v_mul_f32_e32 v128, v62, v240                              // 000000007D74: 0B01E13E
	v_mul_f32_e32 v129, v62, v241                              // 000000007D78: 0B03E33E
	v_mul_f32_e32 v130, v62, v242                              // 000000007D7C: 0B05E53E
	v_mul_f32_e32 v131, v62, v243                              // 000000007D80: 0B07E73E
	v_mul_f32_e32 v132, v62, v244                              // 000000007D84: 0B09E93E
	v_mul_f32_e32 v133, v62, v245                              // 000000007D88: 0B0BEB3E
	v_mul_f32_e32 v134, v62, v246                              // 000000007D8C: 0B0DED3E
	v_mul_f32_e32 v135, v62, v247                              // 000000007D90: 0B0FEF3E
	v_mul_f32_e32 v136, v62, v248                              // 000000007D94: 0B11F13E
	v_mul_f32_e32 v137, v62, v249                              // 000000007D98: 0B13F33E
	v_mul_f32_e32 v138, v62, v250                              // 000000007D9C: 0B15F53E
	v_mul_f32_e32 v139, v62, v251                              // 000000007DA0: 0B17F73E
	v_mul_f32_e32 v140, v62, v252                              // 000000007DA4: 0B19F93E
	v_mul_f32_e32 v141, v62, v253                              // 000000007DA8: 0B1BFB3E
	v_mul_f32_e32 v142, v62, v254                              // 000000007DAC: 0B1DFD3E
	v_mul_f32_e32 v143, v62, v255                              // 000000007DB0: 0B1FFF3E
	v_cvt_i32_f32_e32 v128, v128                               // 000000007DB4: 7F001180
	v_cvt_i32_f32_e32 v129, v129                               // 000000007DB8: 7F021181
	v_cvt_i32_f32_e32 v130, v130                               // 000000007DBC: 7F041182
	v_cvt_i32_f32_e32 v131, v131                               // 000000007DC0: 7F061183
	v_cvt_i32_f32_e32 v132, v132                               // 000000007DC4: 7F081184
	v_cvt_i32_f32_e32 v133, v133                               // 000000007DC8: 7F0A1185
	v_cvt_i32_f32_e32 v134, v134                               // 000000007DCC: 7F0C1186
	v_cvt_i32_f32_e32 v135, v135                               // 000000007DD0: 7F0E1187
	v_cvt_i32_f32_e32 v136, v136                               // 000000007DD4: 7F101188
	v_cvt_i32_f32_e32 v137, v137                               // 000000007DD8: 7F121189
	v_cvt_i32_f32_e32 v138, v138                               // 000000007DDC: 7F14118A
	v_cvt_i32_f32_e32 v139, v139                               // 000000007DE0: 7F16118B
	v_cvt_i32_f32_e32 v140, v140                               // 000000007DE4: 7F18118C
	v_cvt_i32_f32_e32 v141, v141                               // 000000007DE8: 7F1A118D
	v_cvt_i32_f32_e32 v142, v142                               // 000000007DEC: 7F1C118E
	v_cvt_i32_f32_e32 v143, v143                               // 000000007DF0: 7F1E118F
	v_perm_b32 v128, v129, v128, s53                           // 000000007DF4: D1ED0080 00D70181
	v_perm_b32 v128, v130, v128, s54                           // 000000007DFC: D1ED0080 00DB0182
	v_perm_b32 v128, v131, v128, s55                           // 000000007E04: D1ED0080 00DF0183
	v_perm_b32 v129, v133, v132, s53                           // 000000007E0C: D1ED0081 00D70985
	v_perm_b32 v129, v134, v129, s54                           // 000000007E14: D1ED0081 00DB0386
	v_perm_b32 v129, v135, v129, s55                           // 000000007E1C: D1ED0081 00DF0387
	v_perm_b32 v130, v137, v136, s53                           // 000000007E24: D1ED0082 00D71189
	v_perm_b32 v130, v138, v130, s54                           // 000000007E2C: D1ED0082 00DB058A
	v_perm_b32 v130, v139, v130, s55                           // 000000007E34: D1ED0082 00DF058B
	v_perm_b32 v131, v141, v140, s53                           // 000000007E3C: D1ED0083 00D7198D
	v_perm_b32 v131, v142, v131, s54                           // 000000007E44: D1ED0083 00DB078E
	v_perm_b32 v131, v143, v131, s55                           // 000000007E4C: D1ED0083 00DF078F
	ds_write_b32 v13, v128 offset:25088                        // 000000007E54: D81A6200 0000800D
	ds_write_b32 v13, v129 offset:26112                        // 000000007E5C: D81A6600 0000810D
	ds_write_b32 v13, v130 offset:27136                        // 000000007E64: D81A6A00 0000820D
	ds_write_b32 v13, v131 offset:28160                        // 000000007E6C: D81A6E00 0000830D
	v_add_f32_e32 v224, v224, v192                             // 000000007E74: 03C181E0
	v_add_f32_e32 v225, v225, v193                             // 000000007E78: 03C383E1
	v_add_f32_e32 v226, v226, v194                             // 000000007E7C: 03C585E2
	v_add_f32_e32 v227, v227, v195                             // 000000007E80: 03C787E3
	v_add_f32_e32 v228, v228, v196                             // 000000007E84: 03C989E4
	v_add_f32_e32 v229, v229, v197                             // 000000007E88: 03CB8BE5
	v_add_f32_e32 v230, v230, v198                             // 000000007E8C: 03CD8DE6
	v_add_f32_e32 v231, v231, v199                             // 000000007E90: 03CF8FE7
	v_rcp_f32_e32 v58, v62                                     // 000000007E94: 7E74453E
	s_waitcnt lgkmcnt(0)                                       // 000000007E98: BF8CC07F
	s_barrier                                                  // 000000007E9C: BF8A0000
	ds_read_b64 v[128:129], v12 offset:25088                   // 000000007EA0: D8EC6200 8000000C
	ds_read_b64 v[130:131], v12 offset:25216                   // 000000007EA8: D8EC6280 8200000C
	ds_read_b64 v[132:133], v12 offset:26112                   // 000000007EB0: D8EC6600 8400000C
	ds_read_b64 v[134:135], v12 offset:26240                   // 000000007EB8: D8EC6680 8600000C
	ds_read_b64 v[136:137], v12 offset:27136                   // 000000007EC0: D8EC6A00 8800000C
	ds_read_b64 v[138:139], v12 offset:27264                   // 000000007EC8: D8EC6A80 8A00000C
	ds_read_b64 v[140:141], v12 offset:28160                   // 000000007ED0: D8EC6E00 8C00000C
	ds_read_b64 v[142:143], v12 offset:28288                   // 000000007ED8: D8EC6E80 8E00000C
	s_waitcnt vmcnt(15)                                        // 000000007EE0: BF8C0F7F
	s_waitcnt lgkmcnt(7)                                       // 000000007EE4: BF8CC77F
	v_mfma_i32_16x16x32_i8 v[192:195], a[64:65], v[128:129], 0 // 000000007EE8: D3D700C0 0A030140
	buffer_load_dwordx4 a[112:115], v37, s[20:23], 0 offen offset:1024// 000000007EF0: E05C1400 80857025
	s_waitcnt lgkmcnt(6)                                       // 000000007EF8: BF8CC67F
	v_mfma_i32_16x16x32_i8 v[192:195], a[66:67], v[130:131], v[192:195]// 000000007EFC: D3D700C0 0F030542
	s_waitcnt lgkmcnt(5)                                       // 000000007F04: BF8CC57F
	v_mfma_i32_16x16x32_i8 v[192:195], a[68:69], v[132:133], v[192:195]// 000000007F08: D3D700C0 0F030944
	s_waitcnt lgkmcnt(4)                                       // 000000007F10: BF8CC47F
	v_mfma_i32_16x16x32_i8 v[192:195], a[70:71], v[134:135], v[192:195]// 000000007F14: D3D700C0 0F030D46
	s_waitcnt lgkmcnt(3)                                       // 000000007F1C: BF8CC37F
	v_mfma_i32_16x16x32_i8 v[192:195], a[72:73], v[136:137], v[192:195]// 000000007F20: D3D700C0 0F031148
	buffer_load_dwordx4 a[116:119], v38, s[20:23], 0 offen offset:1024// 000000007F28: E05C1400 80857426
	s_waitcnt lgkmcnt(2)                                       // 000000007F30: BF8CC27F
	v_mfma_i32_16x16x32_i8 v[192:195], a[74:75], v[138:139], v[192:195]// 000000007F34: D3D700C0 0F03154A
	s_waitcnt lgkmcnt(1)                                       // 000000007F3C: BF8CC17F
	v_mfma_i32_16x16x32_i8 v[192:195], a[76:77], v[140:141], v[192:195]// 000000007F40: D3D700C0 0F03194C
	s_waitcnt lgkmcnt(0)                                       // 000000007F48: BF8CC07F
	v_mfma_i32_16x16x32_i8 v[192:195], a[78:79], v[142:143], v[192:195]// 000000007F4C: D3D700C0 0F031D4E
	v_mfma_i32_16x16x32_i8 v[196:199], a[80:81], v[128:129], 0 // 000000007F54: D3D700C4 0A030150
	buffer_load_dwordx4 a[120:123], v39, s[20:23], 0 offen offset:1024// 000000007F5C: E05C1400 80857827
	v_mfma_i32_16x16x32_i8 v[196:199], a[82:83], v[130:131], v[196:199]// 000000007F64: D3D700C4 0F130552
	v_mfma_i32_16x16x32_i8 v[196:199], a[84:85], v[132:133], v[196:199]// 000000007F6C: D3D700C4 0F130954
	v_mfma_i32_16x16x32_i8 v[196:199], a[86:87], v[134:135], v[196:199]// 000000007F74: D3D700C4 0F130D56
	v_mfma_i32_16x16x32_i8 v[196:199], a[88:89], v[136:137], v[196:199]// 000000007F7C: D3D700C4 0F131158
	buffer_load_dwordx4 a[124:127], v40, s[20:23], 0 offen offset:1024// 000000007F84: E05C1400 80857C28
	v_mfma_i32_16x16x32_i8 v[196:199], a[90:91], v[138:139], v[196:199]// 000000007F8C: D3D700C4 0F13155A
	v_mfma_i32_16x16x32_i8 v[196:199], a[92:93], v[140:141], v[196:199]// 000000007F94: D3D700C4 0F13195C
	s_lshr_b32 s57, s70, 4                                     // 000000007F9C: 8F398446
	s_add_u32 s57, 48, s57                                     // 000000007FA0: 803939B0
	v_mfma_i32_16x16x32_i8 v[196:199], a[94:95], v[142:143], v[196:199]// 000000007FA4: D3D700C4 0F131D5E
	s_cmp_ge_u32 s57, s73                                      // 000000007FAC: BF094939
	s_cselect_b32 s56, 0, s56                                  // 000000007FB0: 85383880
	v_add_u32_e32 v1, s56, v1                                  // 000000007FB4: 68020238
	s_addk_i32 s70, 0x100                                      // 000000007FB8: B7460100
	s_cmp_lt_i32 s70, s71                                      // 000000007FBC: BF044746
	s_cbranch_scc0 label_14F0                                  // 000000007FC0: BF84FD7F
	s_waitcnt vmcnt(8) lgkmcnt(0)                              // 000000007FC4: BF8C0078
	v_mul_u32_u24_dpp v41, v19, v68 row_newbcast:0 row_mask:0xf bank_mask:0xf// 000000007FC8: 105288FA FF015013
	v_mul_u32_u24_dpp v42, v19, v68 row_newbcast:4 row_mask:0xf bank_mask:0xf// 000000007FD0: 105488FA FF015413
	v_mul_u32_u24_dpp v43, v19, v68 row_newbcast:8 row_mask:0xf bank_mask:0xf// 000000007FD8: 105688FA FF015813
	v_mul_u32_u24_dpp v44, v19, v68 row_newbcast:12 row_mask:0xf bank_mask:0xf// 000000007FE0: 105888FA FF015C13
	v_add_u32_e32 v25, v41, v6                                 // 000000007FE8: 68320D29
	v_add_u32_e32 v26, v42, v6                                 // 000000007FEC: 68340D2A
	v_add_u32_e32 v27, v43, v6                                 // 000000007FF0: 68360D2B
	v_add_u32_e32 v28, v44, v6                                 // 000000007FF4: 68380D2C
	v_mul_u32_u24_dpp v41, v19, v78 quad_perm:[0,0,0,0] row_mask:0xf bank_mask:0xf// 000000007FF8: 10529CFA FF000013
	v_add_u32_e32 v2, v41, v74                                 // 000000008000: 68049529
	v_mul_u32_u24_dpp v41, v19, v78 quad_perm:[0,0,0,0] row_mask:0xf bank_mask:0xf// 000000008004: 10529CFA FF000013
	v_add_u32_e32 v70, v41, v75                                // 00000000800C: 688C9729
	v_mfma_i32_16x16x32_i8 v[128:131], a[32:33], v[96:97], 0   // 000000008010: D3D70080 0A02C120
	buffer_load_dwordx4 a[0:3], v25, s[16:19], 0 offen         // 000000008018: E05C1000 80840019
	v_mfma_i32_16x16x32_i8 v[128:131], a[34:35], v[98:99], v[128:131]// 000000008020: D3D70080 0E02C522
	v_mfma_i32_16x16x32_i8 v[128:131], a[36:37], v[100:101], v[128:131]// 000000008028: D3D70080 0E02C924
	buffer_load_dword v20, v1, s[24:27], 0 offen               // 000000008030: E0501000 80061401
	v_mfma_i32_16x16x32_i8 v[128:131], a[38:39], v[102:103], v[128:131]// 000000008038: D3D70080 0E02CD26
	v_mfma_i32_16x16x32_i8 v[132:135], a[40:41], v[96:97], 0   // 000000008040: D3D70084 0A02C128
	buffer_load_dwordx4 a[4:7], v25, s[16:19], 0 offen offset:1024// 000000008048: E05C1400 80840419
	v_mfma_i32_16x16x32_i8 v[132:135], a[42:43], v[98:99], v[132:135]// 000000008050: D3D70084 0E12C52A
	v_mfma_i32_16x16x32_i8 v[132:135], a[44:45], v[100:101], v[132:135]// 000000008058: D3D70084 0E12C92C
	v_mfma_i32_16x16x32_i8 v[132:135], a[46:47], v[102:103], v[132:135]// 000000008060: D3D70084 0E12CD2E
	v_mfma_i32_16x16x32_i8 v[136:139], a[48:49], v[96:97], 0   // 000000008068: D3D70088 0A02C130
	buffer_load_dwordx4 a[8:11], v26, s[16:19], 0 offen        // 000000008070: E05C1000 8084081A
	v_mfma_i32_16x16x32_i8 v[136:139], a[50:51], v[98:99], v[136:139]// 000000008078: D3D70088 0E22C532
	v_mfma_i32_16x16x32_i8 v[136:139], a[52:53], v[100:101], v[136:139]// 000000008080: D3D70088 0E22C934
	v_mfma_i32_16x16x32_i8 v[136:139], a[54:55], v[102:103], v[136:139]// 000000008088: D3D70088 0E22CD36
	v_mfma_i32_16x16x32_i8 v[140:143], a[56:57], v[96:97], 0   // 000000008090: D3D7008C 0A02C138
	buffer_load_dwordx4 a[12:15], v26, s[16:19], 0 offen offset:1024// 000000008098: E05C1400 80840C1A
	v_mfma_i32_16x16x32_i8 v[140:143], a[58:59], v[98:99], v[140:143]// 0000000080A0: D3D7008C 0E32C53A
	v_mfma_i32_16x16x32_i8 v[140:143], a[60:61], v[100:101], v[140:143]// 0000000080A8: D3D7008C 0E32C93C
	v_mfma_i32_16x16x32_i8 v[140:143], a[62:63], v[102:103], v[140:143]// 0000000080B0: D3D7008C 0E32CD3E
	buffer_load_dword v52, v2, s[32:35], 0 offen               // 0000000080B8: E0501000 80083402
	v_mov_b32_dpp v41, v53 row_shr:4 row_mask:0xf bank_mask:0xf// 0000000080C0: 7E5202FA FF011435
	v_mov_b32_dpp v42, v53 row_shl:4 row_mask:0xf bank_mask:0xf// 0000000080C8: 7E5402FA FF010435
	v_cndmask_b32_e64 v248, v53, v41, s[44:45]                 // 0000000080D0: D10000F8 00B25335
	v_cndmask_b32_e64 v249, v42, v53, s[44:45]                 // 0000000080D8: D10000F9 00B26B2A
	v_mov_b32_dpp v41, v248 row_shr:8 row_mask:0xf bank_mask:0xf// 0000000080E0: 7E5202FA FF0118F8
	v_mov_b32_dpp v42, v248 row_shl:8 row_mask:0xf bank_mask:0xf// 0000000080E8: 7E5402FA FF0108F8
	v_mov_b32_dpp v43, v249 row_shr:8 row_mask:0xf bank_mask:0xf// 0000000080F0: 7E5602FA FF0118F9
	v_mov_b32_dpp v44, v249 row_shl:8 row_mask:0xf bank_mask:0xf// 0000000080F8: 7E5802FA FF0108F9
	v_mov_b32_e32 v45, v248                                    // 000000008100: 7E5A03F8
	v_mov_b32_e32 v46, v249                                    // 000000008104: 7E5C03F9
	v_cndmask_b32_e64 v248, v45, v41, s[42:43]                 // 000000008108: D10000F8 00AA532D
	v_cndmask_b32_e64 v250, v45, v42, s[78:79]                 // 000000008110: D10000FA 013A552D
	v_cndmask_b32_e64 v249, v46, v43, s[42:43]                 // 000000008118: D10000F9 00AA572E
	v_cndmask_b32_e64 v251, v46, v44, s[78:79]                 // 000000008120: D10000FB 013A592E
	v_mov_b32_dpp v41, v73 row_shr:4 row_mask:0xf bank_mask:0xf// 000000008128: 7E5202FA FF011449
	v_mov_b32_dpp v42, v73 row_shl:4 row_mask:0xf bank_mask:0xf// 000000008130: 7E5402FA FF010449
	v_cndmask_b32_e64 v252, v73, v41, s[44:45]                 // 000000008138: D10000FC 00B25349
	v_cndmask_b32_e64 v253, v42, v73, s[44:45]                 // 000000008140: D10000FD 00B2932A
	v_mov_b32_dpp v41, v252 row_shr:8 row_mask:0xf bank_mask:0xf// 000000008148: 7E5202FA FF0118FC
	v_mov_b32_dpp v42, v252 row_shl:8 row_mask:0xf bank_mask:0xf// 000000008150: 7E5402FA FF0108FC
	v_mov_b32_dpp v43, v253 row_shr:8 row_mask:0xf bank_mask:0xf// 000000008158: 7E5602FA FF0118FD
	v_mov_b32_dpp v44, v253 row_shl:8 row_mask:0xf bank_mask:0xf// 000000008160: 7E5802FA FF0108FD
	v_mov_b32_e32 v45, v252                                    // 000000008168: 7E5A03FC
	v_mov_b32_e32 v46, v253                                    // 00000000816C: 7E5C03FD
	v_cndmask_b32_e64 v252, v45, v41, s[42:43]                 // 000000008170: D10000FC 00AA532D
	v_cndmask_b32_e64 v254, v45, v42, s[78:79]                 // 000000008178: D10000FE 013A552D
	v_cndmask_b32_e64 v253, v46, v43, s[42:43]                 // 000000008180: D10000FD 00AA572E
	v_cndmask_b32_e64 v255, v46, v44, s[78:79]                 // 000000008188: D10000FF 013A592E
	buffer_load_dword v72, v70, s[36:39], 0 offen              // 000000008190: E0501000 80094846
	v_cvt_f32_i32_e32 v128, v128                               // 000000008198: 7F000B80
	v_cvt_f32_i32_e32 v129, v129                               // 00000000819C: 7F020B81
	v_cvt_f32_i32_e32 v130, v130                               // 0000000081A0: 7F040B82
	v_cvt_f32_i32_e32 v131, v131                               // 0000000081A4: 7F060B83
	v_cvt_f32_i32_e32 v132, v132                               // 0000000081A8: 7F080B84
	v_cvt_f32_i32_e32 v133, v133                               // 0000000081AC: 7F0A0B85
	v_cvt_f32_i32_e32 v134, v134                               // 0000000081B0: 7F0C0B86
	v_cvt_f32_i32_e32 v135, v135                               // 0000000081B4: 7F0E0B87
	v_cvt_f32_i32_e32 v136, v136                               // 0000000081B8: 7F100B88
	v_cvt_f32_i32_e32 v137, v137                               // 0000000081BC: 7F120B89
	v_cvt_f32_i32_e32 v138, v138                               // 0000000081C0: 7F140B8A
	v_cvt_f32_i32_e32 v139, v139                               // 0000000081C4: 7F160B8B
	v_cvt_f32_i32_e32 v140, v140                               // 0000000081C8: 7F180B8C
	v_cvt_f32_i32_e32 v141, v141                               // 0000000081CC: 7F1A0B8D
	v_cvt_f32_i32_e32 v142, v142                               // 0000000081D0: 7F1C0B8E
	v_cvt_f32_i32_e32 v143, v143                               // 0000000081D4: 7F1E0B8F
	v_mul_f32_e32 v128, v54, v128                              // 0000000081D8: 0B010136
	v_mul_f32_e32 v129, v54, v129                              // 0000000081DC: 0B030336
	v_mul_f32_e32 v130, v54, v130                              // 0000000081E0: 0B050536
	v_mul_f32_e32 v131, v54, v131                              // 0000000081E4: 0B070736
	v_mul_f32_e32 v132, v54, v132                              // 0000000081E8: 0B090936
	v_mul_f32_e32 v133, v54, v133                              // 0000000081EC: 0B0B0B36
	v_mul_f32_e32 v134, v54, v134                              // 0000000081F0: 0B0D0D36
	v_mul_f32_e32 v135, v54, v135                              // 0000000081F4: 0B0F0F36
	v_mul_f32_e32 v136, v54, v136                              // 0000000081F8: 0B111136
	v_mul_f32_e32 v137, v54, v137                              // 0000000081FC: 0B131336
	v_mul_f32_e32 v138, v54, v138                              // 000000008200: 0B151536
	v_mul_f32_e32 v139, v54, v139                              // 000000008204: 0B171736
	v_mul_f32_e32 v140, v54, v140                              // 000000008208: 0B191936
	v_mul_f32_e32 v141, v54, v141                              // 00000000820C: 0B1B1B36
	v_mul_f32_e32 v142, v54, v142                              // 000000008210: 0B1D1D36
	v_mul_f32_e32 v143, v54, v143                              // 000000008214: 0B1F1F36
	buffer_load_dwordx4 a[16:19], v27, s[16:19], 0 offen       // 000000008218: E05C1000 8084101B
	v_mul_f32_dpp v128, v248, v128 quad_perm:[0,0,0,0] row_mask:0xf bank_mask:0xf// 000000008220: 0B0100FA FF0000F8
	v_mul_f32_dpp v129, v248, v129 quad_perm:[1,1,1,1] row_mask:0xf bank_mask:0xf// 000000008228: 0B0302FA FF0055F8
	v_mul_f32_dpp v130, v248, v130 quad_perm:[2,2,2,2] row_mask:0xf bank_mask:0xf// 000000008230: 0B0504FA FF00AAF8
	v_mul_f32_dpp v131, v248, v131 quad_perm:[3,3,3,3] row_mask:0xf bank_mask:0xf// 000000008238: 0B0706FA FF00FFF8
	v_mul_f32_dpp v132, v249, v132 quad_perm:[0,0,0,0] row_mask:0xf bank_mask:0xf// 000000008240: 0B0908FA FF0000F9
	v_mul_f32_dpp v133, v249, v133 quad_perm:[1,1,1,1] row_mask:0xf bank_mask:0xf// 000000008248: 0B0B0AFA FF0055F9
	v_mul_f32_dpp v134, v249, v134 quad_perm:[2,2,2,2] row_mask:0xf bank_mask:0xf// 000000008250: 0B0D0CFA FF00AAF9
	v_mul_f32_dpp v135, v249, v135 quad_perm:[3,3,3,3] row_mask:0xf bank_mask:0xf// 000000008258: 0B0F0EFA FF00FFF9
	v_mul_f32_dpp v136, v250, v136 quad_perm:[0,0,0,0] row_mask:0xf bank_mask:0xf// 000000008260: 0B1110FA FF0000FA
	v_mul_f32_dpp v137, v250, v137 quad_perm:[1,1,1,1] row_mask:0xf bank_mask:0xf// 000000008268: 0B1312FA FF0055FA
	v_mul_f32_dpp v138, v250, v138 quad_perm:[2,2,2,2] row_mask:0xf bank_mask:0xf// 000000008270: 0B1514FA FF00AAFA
	v_mul_f32_dpp v139, v250, v139 quad_perm:[3,3,3,3] row_mask:0xf bank_mask:0xf// 000000008278: 0B1716FA FF00FFFA
	v_mul_f32_dpp v140, v251, v140 quad_perm:[0,0,0,0] row_mask:0xf bank_mask:0xf// 000000008280: 0B1918FA FF0000FB
	v_mul_f32_dpp v141, v251, v141 quad_perm:[1,1,1,1] row_mask:0xf bank_mask:0xf// 000000008288: 0B1B1AFA FF0055FB
	v_mul_f32_dpp v142, v251, v142 quad_perm:[2,2,2,2] row_mask:0xf bank_mask:0xf// 000000008290: 0B1D1CFA FF00AAFB
	v_mul_f32_dpp v143, v251, v143 quad_perm:[3,3,3,3] row_mask:0xf bank_mask:0xf// 000000008298: 0B1F1EFA FF00FFFB
	buffer_load_dwordx4 a[20:23], v27, s[16:19], 0 offen offset:1024// 0000000082A0: E05C1400 8084141B
	v_mov_b32_e32 v62, v128                                    // 0000000082A8: 7E7C0380
	v_max3_f32 v62, v128, v129, v62                            // 0000000082AC: D1D3003E 04FB0380
	v_max3_f32 v62, v130, v131, v62                            // 0000000082B4: D1D3003E 04FB0782
	v_max3_f32 v62, v132, v133, v62                            // 0000000082BC: D1D3003E 04FB0B84
	v_max3_f32 v62, v134, v135, v62                            // 0000000082C4: D1D3003E 04FB0F86
	v_max3_f32 v62, v136, v137, v62                            // 0000000082CC: D1D3003E 04FB1388
	v_max3_f32 v62, v138, v139, v62                            // 0000000082D4: D1D3003E 04FB178A
	v_max3_f32 v62, v140, v141, v62                            // 0000000082DC: D1D3003E 04FB1B8C
	v_max3_f32 v62, v142, v143, v62                            // 0000000082E4: D1D3003E 04FB1F8E
	ds_write_b32 v11, v62 offset:16896                         // 0000000082EC: D81A4200 00003E0B
	buffer_load_dwordx4 a[24:27], v28, s[16:19], 0 offen       // 0000000082F4: E05C1000 8084181C
	v_mul_u32_u24_dpp v41, v19, v68 row_newbcast:1 row_mask:0xf bank_mask:0xf// 0000000082FC: 105288FA FF015113
	v_mul_u32_u24_dpp v42, v19, v68 row_newbcast:5 row_mask:0xf bank_mask:0xf// 000000008304: 105488FA FF015513
	v_mul_u32_u24_dpp v43, v19, v68 row_newbcast:9 row_mask:0xf bank_mask:0xf// 00000000830C: 105688FA FF015913
	v_mul_u32_u24_dpp v44, v19, v68 row_newbcast:13 row_mask:0xf bank_mask:0xf// 000000008314: 105888FA FF015D13
	v_add_u32_e32 v33, v41, v7                                 // 00000000831C: 68420F29
	v_add_u32_e32 v34, v42, v7                                 // 000000008320: 68440F2A
	v_add_u32_e32 v35, v43, v7                                 // 000000008324: 68460F2B
	v_add_u32_e32 v36, v44, v7                                 // 000000008328: 68480F2C
	v_mul_f32_e32 v224, v63, v224                              // 00000000832C: 0BC1C13F
	v_mul_f32_e32 v225, v63, v225                              // 000000008330: 0BC3C33F
	v_mul_f32_e32 v226, v63, v226                              // 000000008334: 0BC5C53F
	v_mul_f32_e32 v227, v63, v227                              // 000000008338: 0BC7C73F
	v_mul_f32_e32 v228, v63, v228                              // 00000000833C: 0BC9C93F
	v_mul_f32_e32 v229, v63, v229                              // 000000008340: 0BCBCB3F
	v_mul_f32_e32 v230, v63, v230                              // 000000008344: 0BCDCD3F
	v_mul_f32_e32 v231, v63, v231                              // 000000008348: 0BCFCF3F
	s_waitcnt lgkmcnt(0)                                       // 00000000834C: BF8CC07F
	s_barrier                                                  // 000000008350: BF8A0000
	ds_read_b32 v80, v10 offset:16896                          // 000000008354: D86C4200 5000000A
	ds_read_b32 v81, v10 offset:16960                          // 00000000835C: D86C4240 5100000A
	ds_read_b32 v82, v10 offset:17024                          // 000000008364: D86C4280 5200000A
	ds_read_b32 v83, v10 offset:17088                          // 00000000836C: D86C42C0 5300000A
	ds_read_b32 v84, v10 offset:17152                          // 000000008374: D86C4300 5400000A
	ds_read_b32 v85, v10 offset:17216                          // 00000000837C: D86C4340 5500000A
	ds_read_b32 v86, v10 offset:17280                          // 000000008384: D86C4380 5600000A
	ds_read_b32 v87, v10 offset:17344                          // 00000000838C: D86C43C0 5700000A
	ds_read_b32 v88, v10 offset:17408                          // 000000008394: D86C4400 5800000A
	ds_read_b32 v89, v10 offset:17472                          // 00000000839C: D86C4440 5900000A
	ds_read_b32 v90, v10 offset:17536                          // 0000000083A4: D86C4480 5A00000A
	ds_read_b32 v91, v10 offset:17600                          // 0000000083AC: D86C44C0 5B00000A
	ds_read_b32 v92, v10 offset:17664                          // 0000000083B4: D86C4500 5C00000A
	ds_read_b32 v93, v10 offset:17728                          // 0000000083BC: D86C4540 5D00000A
	ds_read_b32 v94, v10 offset:17792                          // 0000000083C4: D86C4580 5E00000A
	ds_read_b32 v95, v10 offset:17856                          // 0000000083CC: D86C45C0 5F00000A
	buffer_load_dwordx4 a[28:31], v28, s[16:19], 0 offen offset:1024// 0000000083D4: E05C1400 80841C1C
	v_cvt_f32_i32_e32 v192, v192                               // 0000000083DC: 7F800BC0
	v_cvt_f32_i32_e32 v193, v193                               // 0000000083E0: 7F820BC1
	v_cvt_f32_i32_e32 v194, v194                               // 0000000083E4: 7F840BC2
	v_cvt_f32_i32_e32 v195, v195                               // 0000000083E8: 7F860BC3
	v_cvt_f32_i32_e32 v196, v196                               // 0000000083EC: 7F880BC4
	v_cvt_f32_i32_e32 v197, v197                               // 0000000083F0: 7F8A0BC5
	v_cvt_f32_i32_e32 v198, v198                               // 0000000083F4: 7F8C0BC6
	v_cvt_f32_i32_e32 v199, v199                               // 0000000083F8: 7F8E0BC7
	v_mul_f32_e32 v192, v58, v192                              // 0000000083FC: 0B81813A
	v_mul_f32_e32 v193, v58, v193                              // 000000008400: 0B83833A
	v_mul_f32_e32 v194, v58, v194                              // 000000008404: 0B85853A
	v_mul_f32_e32 v195, v58, v195                              // 000000008408: 0B87873A
	v_mul_f32_e32 v196, v58, v196                              // 00000000840C: 0B89893A
	v_mul_f32_e32 v197, v58, v197                              // 000000008410: 0B8B8B3A
	v_mul_f32_e32 v198, v58, v198                              // 000000008414: 0B8D8D3A
	v_mul_f32_e32 v199, v58, v199                              // 000000008418: 0B8F8F3A
	s_waitcnt lgkmcnt(0)                                       // 00000000841C: BF8CC07F
	v_max3_f32 v62, v80, v81, v62                              // 000000008420: D1D3003E 04FAA350
	v_max3_f32 v62, v82, v83, v62                              // 000000008428: D1D3003E 04FAA752
	v_max3_f32 v62, v84, v85, v62                              // 000000008430: D1D3003E 04FAAB54
	v_max3_f32 v62, v86, v87, v62                              // 000000008438: D1D3003E 04FAAF56
	v_max3_f32 v62, v88, v89, v62                              // 000000008440: D1D3003E 04FAB358
	v_max3_f32 v62, v90, v91, v62                              // 000000008448: D1D3003E 04FAB75A
	v_max3_f32 v62, v92, v93, v62                              // 000000008450: D1D3003E 04FABB5C
	v_max3_f32 v62, v94, v95, v62                              // 000000008458: D1D3003E 04FABF5E
	buffer_load_dwordx4 a[64:67], v33, s[20:23], 0 offen       // 000000008460: E05C1000 80854021
	v_mov_b32_e32 v41, 0xff800000                              // 000000008468: 7E5202FF FF800000
	v_cmp_eq_u32_e64 s[40:41], v41, v14                        // 000000008470: D0CA0028 00021D29
	s_nop 1                                                    // 000000008478: BF800001
	v_max_f32_e32 v18, v62, v14                                // 00000000847C: 16241D3E
	v_mul_f32_e32 v67, s64, v18                                // 000000008480: 0A862440
	v_fma_f32 v128, v128, s64, -v67                            // 000000008484: D1CB0080 850C8180
	v_fma_f32 v129, v129, s64, -v67                            // 00000000848C: D1CB0081 850C8181
	v_fma_f32 v130, v130, s64, -v67                            // 000000008494: D1CB0082 850C8182
	v_fma_f32 v131, v131, s64, -v67                            // 00000000849C: D1CB0083 850C8183
	v_fma_f32 v132, v132, s64, -v67                            // 0000000084A4: D1CB0084 850C8184
	v_fma_f32 v133, v133, s64, -v67                            // 0000000084AC: D1CB0085 850C8185
	v_fma_f32 v134, v134, s64, -v67                            // 0000000084B4: D1CB0086 850C8186
	v_fma_f32 v135, v135, s64, -v67                            // 0000000084BC: D1CB0087 850C8187
	v_fma_f32 v136, v136, s64, -v67                            // 0000000084C4: D1CB0088 850C8188
	v_fma_f32 v137, v137, s64, -v67                            // 0000000084CC: D1CB0089 850C8189
	v_fma_f32 v138, v138, s64, -v67                            // 0000000084D4: D1CB008A 850C818A
	v_fma_f32 v139, v139, s64, -v67                            // 0000000084DC: D1CB008B 850C818B
	v_fma_f32 v140, v140, s64, -v67                            // 0000000084E4: D1CB008C 850C818C
	v_fma_f32 v141, v141, s64, -v67                            // 0000000084EC: D1CB008D 850C818D
	v_fma_f32 v142, v142, s64, -v67                            // 0000000084F4: D1CB008E 850C818E
	v_fma_f32 v143, v143, s64, -v67                            // 0000000084FC: D1CB008F 850C818F
	buffer_load_dwordx4 a[68:71], v34, s[20:23], 0 offen       // 000000008504: E05C1000 80854422
	v_exp_f32_e32 v128, v128                                   // 00000000850C: 7F004180
	v_exp_f32_e32 v129, v129                                   // 000000008510: 7F024181
	v_exp_f32_e32 v130, v130                                   // 000000008514: 7F044182
	v_exp_f32_e32 v131, v131                                   // 000000008518: 7F064183
	v_exp_f32_e32 v132, v132                                   // 00000000851C: 7F084184
	v_exp_f32_e32 v133, v133                                   // 000000008520: 7F0A4185
	v_exp_f32_e32 v134, v134                                   // 000000008524: 7F0C4186
	v_exp_f32_e32 v135, v135                                   // 000000008528: 7F0E4187
	v_exp_f32_e32 v136, v136                                   // 00000000852C: 7F104188
	v_exp_f32_e32 v137, v137                                   // 000000008530: 7F124189
	v_exp_f32_e32 v138, v138                                   // 000000008534: 7F14418A
	v_exp_f32_e32 v139, v139                                   // 000000008538: 7F16418B
	v_exp_f32_e32 v140, v140                                   // 00000000853C: 7F18418C
	v_exp_f32_e32 v141, v141                                   // 000000008540: 7F1A418D
	v_exp_f32_e32 v142, v142                                   // 000000008544: 7F1C418E
	v_exp_f32_e32 v143, v143                                   // 000000008548: 7F1E418F
	buffer_load_dwordx4 a[72:75], v35, s[20:23], 0 offen       // 00000000854C: E05C1000 80854823
	v_mul_f32_dpp v240, v252, v128 quad_perm:[0,0,0,0] row_mask:0xf bank_mask:0xf// 000000008554: 0BE100FA FF0000FC
	v_mul_f32_dpp v241, v252, v129 quad_perm:[1,1,1,1] row_mask:0xf bank_mask:0xf// 00000000855C: 0BE302FA FF0055FC
	v_mul_f32_dpp v242, v252, v130 quad_perm:[2,2,2,2] row_mask:0xf bank_mask:0xf// 000000008564: 0BE504FA FF00AAFC
	v_mul_f32_dpp v243, v252, v131 quad_perm:[3,3,3,3] row_mask:0xf bank_mask:0xf// 00000000856C: 0BE706FA FF00FFFC
	v_mul_f32_dpp v244, v253, v132 quad_perm:[0,0,0,0] row_mask:0xf bank_mask:0xf// 000000008574: 0BE908FA FF0000FD
	v_mul_f32_dpp v245, v253, v133 quad_perm:[1,1,1,1] row_mask:0xf bank_mask:0xf// 00000000857C: 0BEB0AFA FF0055FD
	v_mul_f32_dpp v246, v253, v134 quad_perm:[2,2,2,2] row_mask:0xf bank_mask:0xf// 000000008584: 0BED0CFA FF00AAFD
	v_mul_f32_dpp v247, v253, v135 quad_perm:[3,3,3,3] row_mask:0xf bank_mask:0xf// 00000000858C: 0BEF0EFA FF00FFFD
	v_mul_f32_dpp v248, v254, v136 quad_perm:[0,0,0,0] row_mask:0xf bank_mask:0xf// 000000008594: 0BF110FA FF0000FE
	v_mul_f32_dpp v249, v254, v137 quad_perm:[1,1,1,1] row_mask:0xf bank_mask:0xf// 00000000859C: 0BF312FA FF0055FE
	v_mul_f32_dpp v250, v254, v138 quad_perm:[2,2,2,2] row_mask:0xf bank_mask:0xf// 0000000085A4: 0BF514FA FF00AAFE
	v_mul_f32_dpp v251, v254, v139 quad_perm:[3,3,3,3] row_mask:0xf bank_mask:0xf// 0000000085AC: 0BF716FA FF00FFFE
	v_mul_f32_dpp v252, v255, v140 quad_perm:[0,0,0,0] row_mask:0xf bank_mask:0xf// 0000000085B4: 0BF918FA FF0000FF
	v_mul_f32_dpp v253, v255, v141 quad_perm:[1,1,1,1] row_mask:0xf bank_mask:0xf// 0000000085BC: 0BFB1AFA FF0055FF
	v_mul_f32_dpp v254, v255, v142 quad_perm:[2,2,2,2] row_mask:0xf bank_mask:0xf// 0000000085C4: 0BFD1CFA FF00AAFF
	v_mul_f32_dpp v255, v255, v143 quad_perm:[3,3,3,3] row_mask:0xf bank_mask:0xf// 0000000085CC: 0BFF1EFA FF00FFFF
	v_mov_b32_e32 v62, 0x358637bd                              // 0000000085D4: 7E7C02FF 358637BD
	v_max3_f32 v62, |v240|, |v241|, v62                        // 0000000085DC: D1D3033E 04FBE3F0
	v_max3_f32 v62, |v242|, |v243|, v62                        // 0000000085E4: D1D3033E 04FBE7F2
	v_max3_f32 v62, |v244|, |v245|, v62                        // 0000000085EC: D1D3033E 04FBEBF4
	v_max3_f32 v62, |v246|, |v247|, v62                        // 0000000085F4: D1D3033E 04FBEFF6
	v_max3_f32 v62, |v248|, |v249|, v62                        // 0000000085FC: D1D3033E 04FBF3F8
	v_max3_f32 v62, |v250|, |v251|, v62                        // 000000008604: D1D3033E 04FBF7FA
	v_max3_f32 v62, |v252|, |v253|, v62                        // 00000000860C: D1D3033E 04FBFBFC
	v_max3_f32 v62, |v254|, |v255|, v62                        // 000000008614: D1D3033E 04FBFFFE
	buffer_load_dwordx4 a[76:79], v36, s[20:23], 0 offen       // 00000000861C: E05C1000 80854C24
	ds_write_b32 v11, v62 offset:20992                         // 000000008624: D81A5200 00003E0B
	v_sub_f32_e32 v63, v14, v18                                // 00000000862C: 047E250E
	v_cndmask_b32_e64 v63, v63, 0, s[40:41]                    // 000000008630: D100003F 00A1013F
	v_mov_b32_e32 v14, v18                                     // 000000008638: 7E1C0312
	v_mul_f32_e32 v63, s64, v63                                // 00000000863C: 0A7E7E40
	v_exp_f32_e32 v63, v63                                     // 000000008640: 7E7E413F
	s_waitcnt lgkmcnt(0)                                       // 000000008644: BF8CC07F
	s_barrier                                                  // 000000008648: BF8A0000
	ds_read_b32 v80, v10 offset:20992                          // 00000000864C: D86C5200 5000000A
	ds_read_b32 v81, v10 offset:21056                          // 000000008654: D86C5240 5100000A
	ds_read_b32 v82, v10 offset:21120                          // 00000000865C: D86C5280 5200000A
	ds_read_b32 v83, v10 offset:21184                          // 000000008664: D86C52C0 5300000A
	ds_read_b32 v84, v10 offset:21248                          // 00000000866C: D86C5300 5400000A
	ds_read_b32 v85, v10 offset:21312                          // 000000008674: D86C5340 5500000A
	ds_read_b32 v86, v10 offset:21376                          // 00000000867C: D86C5380 5600000A
	ds_read_b32 v87, v10 offset:21440                          // 000000008684: D86C53C0 5700000A
	ds_read_b32 v88, v10 offset:21504                          // 00000000868C: D86C5400 5800000A
	ds_read_b32 v89, v10 offset:21568                          // 000000008694: D86C5440 5900000A
	ds_read_b32 v90, v10 offset:21632                          // 00000000869C: D86C5480 5A00000A
	ds_read_b32 v91, v10 offset:21696                          // 0000000086A4: D86C54C0 5B00000A
	ds_read_b32 v92, v10 offset:21760                          // 0000000086AC: D86C5500 5C00000A
	ds_read_b32 v93, v10 offset:21824                          // 0000000086B4: D86C5540 5D00000A
	ds_read_b32 v94, v10 offset:21888                          // 0000000086BC: D86C5580 5E00000A
	ds_read_b32 v95, v10 offset:21952                          // 0000000086C4: D86C55C0 5F00000A
	v_mul_f32_e32 v47, v63, v47                                // 0000000086CC: 0A5E5F3F
	v_mov_b32_e32 v18, v128                                    // 0000000086D0: 7E240380
	v_add_f32_e32 v18, v129, v18                               // 0000000086D4: 02242581
	v_add_f32_e32 v18, v130, v18                               // 0000000086D8: 02242582
	v_add_f32_e32 v18, v131, v18                               // 0000000086DC: 02242583
	v_add_f32_e32 v18, v132, v18                               // 0000000086E0: 02242584
	v_add_f32_e32 v18, v133, v18                               // 0000000086E4: 02242585
	v_add_f32_e32 v18, v134, v18                               // 0000000086E8: 02242586
	v_add_f32_e32 v18, v135, v18                               // 0000000086EC: 02242587
	v_add_f32_e32 v18, v136, v18                               // 0000000086F0: 02242588
	v_add_f32_e32 v18, v137, v18                               // 0000000086F4: 02242589
	v_add_f32_e32 v18, v138, v18                               // 0000000086F8: 0224258A
	v_add_f32_e32 v18, v139, v18                               // 0000000086FC: 0224258B
	v_add_f32_e32 v18, v140, v18                               // 000000008700: 0224258C
	v_add_f32_e32 v18, v141, v18                               // 000000008704: 0224258D
	v_add_f32_e32 v18, v142, v18                               // 000000008708: 0224258E
	v_add_f32_e32 v18, v143, v18                               // 00000000870C: 0224258F
	v_add_f32_e32 v47, v18, v47                                // 000000008710: 025E5F12
	s_waitcnt lgkmcnt(0)                                       // 000000008714: BF8CC07F
	v_max3_f32 v62, |v80|, |v81|, v62                          // 000000008718: D1D3033E 04FAA350
	v_max3_f32 v62, |v82|, |v83|, v62                          // 000000008720: D1D3033E 04FAA752
	v_max3_f32 v62, |v84|, |v85|, v62                          // 000000008728: D1D3033E 04FAAB54
	v_max3_f32 v62, |v86|, |v87|, v62                          // 000000008730: D1D3033E 04FAAF56
	v_max3_f32 v62, |v88|, |v89|, v62                          // 000000008738: D1D3033E 04FAB358
	v_max3_f32 v62, |v90|, |v91|, v62                          // 000000008740: D1D3033E 04FAB75A
	v_max3_f32 v62, |v92|, |v93|, v62                          // 000000008748: D1D3033E 04FABB5C
	v_max3_f32 v62, |v94|, |v95|, v62                          // 000000008750: D1D3033E 04FABF5E
	s_nop 2                                                    // 000000008758: BF800002
	v_rcp_f32_e32 v62, v62                                     // 00000000875C: 7E7C453E
	s_nop 1                                                    // 000000008760: BF800001
	v_mul_f32_e32 v62, 0x42fe0000, v62                         // 000000008764: 0A7C7CFF 42FE0000
	v_mul_f32_e32 v128, v62, v240                              // 00000000876C: 0B01E13E
	v_mul_f32_e32 v129, v62, v241                              // 000000008770: 0B03E33E
	v_mul_f32_e32 v130, v62, v242                              // 000000008774: 0B05E53E
	v_mul_f32_e32 v131, v62, v243                              // 000000008778: 0B07E73E
	v_mul_f32_e32 v132, v62, v244                              // 00000000877C: 0B09E93E
	v_mul_f32_e32 v133, v62, v245                              // 000000008780: 0B0BEB3E
	v_mul_f32_e32 v134, v62, v246                              // 000000008784: 0B0DED3E
	v_mul_f32_e32 v135, v62, v247                              // 000000008788: 0B0FEF3E
	v_mul_f32_e32 v136, v62, v248                              // 00000000878C: 0B11F13E
	v_mul_f32_e32 v137, v62, v249                              // 000000008790: 0B13F33E
	v_mul_f32_e32 v138, v62, v250                              // 000000008794: 0B15F53E
	v_mul_f32_e32 v139, v62, v251                              // 000000008798: 0B17F73E
	v_mul_f32_e32 v140, v62, v252                              // 00000000879C: 0B19F93E
	v_mul_f32_e32 v141, v62, v253                              // 0000000087A0: 0B1BFB3E
	v_mul_f32_e32 v142, v62, v254                              // 0000000087A4: 0B1DFD3E
	v_mul_f32_e32 v143, v62, v255                              // 0000000087A8: 0B1FFF3E
	v_cvt_i32_f32_e32 v128, v128                               // 0000000087AC: 7F001180
	v_cvt_i32_f32_e32 v129, v129                               // 0000000087B0: 7F021181
	v_cvt_i32_f32_e32 v130, v130                               // 0000000087B4: 7F041182
	v_cvt_i32_f32_e32 v131, v131                               // 0000000087B8: 7F061183
	v_cvt_i32_f32_e32 v132, v132                               // 0000000087BC: 7F081184
	v_cvt_i32_f32_e32 v133, v133                               // 0000000087C0: 7F0A1185
	v_cvt_i32_f32_e32 v134, v134                               // 0000000087C4: 7F0C1186
	v_cvt_i32_f32_e32 v135, v135                               // 0000000087C8: 7F0E1187
	v_cvt_i32_f32_e32 v136, v136                               // 0000000087CC: 7F101188
	v_cvt_i32_f32_e32 v137, v137                               // 0000000087D0: 7F121189
	v_cvt_i32_f32_e32 v138, v138                               // 0000000087D4: 7F14118A
	v_cvt_i32_f32_e32 v139, v139                               // 0000000087D8: 7F16118B
	v_cvt_i32_f32_e32 v140, v140                               // 0000000087DC: 7F18118C
	v_cvt_i32_f32_e32 v141, v141                               // 0000000087E0: 7F1A118D
	v_cvt_i32_f32_e32 v142, v142                               // 0000000087E4: 7F1C118E
	v_cvt_i32_f32_e32 v143, v143                               // 0000000087E8: 7F1E118F
	v_perm_b32 v128, v129, v128, s53                           // 0000000087EC: D1ED0080 00D70181
	v_perm_b32 v128, v130, v128, s54                           // 0000000087F4: D1ED0080 00DB0182
	v_perm_b32 v128, v131, v128, s55                           // 0000000087FC: D1ED0080 00DF0183
	v_perm_b32 v129, v133, v132, s53                           // 000000008804: D1ED0081 00D70985
	v_perm_b32 v129, v134, v129, s54                           // 00000000880C: D1ED0081 00DB0386
	v_perm_b32 v129, v135, v129, s55                           // 000000008814: D1ED0081 00DF0387
	v_perm_b32 v130, v137, v136, s53                           // 00000000881C: D1ED0082 00D71189
	v_perm_b32 v130, v138, v130, s54                           // 000000008824: D1ED0082 00DB058A
	v_perm_b32 v130, v139, v130, s55                           // 00000000882C: D1ED0082 00DF058B
	v_perm_b32 v131, v141, v140, s53                           // 000000008834: D1ED0083 00D7198D
	v_perm_b32 v131, v142, v131, s54                           // 00000000883C: D1ED0083 00DB078E
	v_perm_b32 v131, v143, v131, s55                           // 000000008844: D1ED0083 00DF078F
	ds_write_b32 v13, v128 offset:25088                        // 00000000884C: D81A6200 0000800D
	ds_write_b32 v13, v129 offset:26112                        // 000000008854: D81A6600 0000810D
	ds_write_b32 v13, v130 offset:27136                        // 00000000885C: D81A6A00 0000820D
	ds_write_b32 v13, v131 offset:28160                        // 000000008864: D81A6E00 0000830D
	v_add_f32_e32 v224, v224, v192                             // 00000000886C: 03C181E0
	v_add_f32_e32 v225, v225, v193                             // 000000008870: 03C383E1
	v_add_f32_e32 v226, v226, v194                             // 000000008874: 03C585E2
	v_add_f32_e32 v227, v227, v195                             // 000000008878: 03C787E3
	v_add_f32_e32 v228, v228, v196                             // 00000000887C: 03C989E4
	v_add_f32_e32 v229, v229, v197                             // 000000008880: 03CB8BE5
	v_add_f32_e32 v230, v230, v198                             // 000000008884: 03CD8DE6
	v_add_f32_e32 v231, v231, v199                             // 000000008888: 03CF8FE7
	v_rcp_f32_e32 v58, v62                                     // 00000000888C: 7E74453E
	s_waitcnt lgkmcnt(0)                                       // 000000008890: BF8CC07F
	s_barrier                                                  // 000000008894: BF8A0000
	ds_read_b64 v[128:129], v12 offset:25088                   // 000000008898: D8EC6200 8000000C
	ds_read_b64 v[130:131], v12 offset:25216                   // 0000000088A0: D8EC6280 8200000C
	ds_read_b64 v[132:133], v12 offset:26112                   // 0000000088A8: D8EC6600 8400000C
	ds_read_b64 v[134:135], v12 offset:26240                   // 0000000088B0: D8EC6680 8600000C
	ds_read_b64 v[136:137], v12 offset:27136                   // 0000000088B8: D8EC6A00 8800000C
	ds_read_b64 v[138:139], v12 offset:27264                   // 0000000088C0: D8EC6A80 8A00000C
	ds_read_b64 v[140:141], v12 offset:28160                   // 0000000088C8: D8EC6E00 8C00000C
	ds_read_b64 v[142:143], v12 offset:28288                   // 0000000088D0: D8EC6E80 8E00000C
	s_waitcnt vmcnt(15)                                        // 0000000088D8: BF8C0F7F
	s_waitcnt lgkmcnt(7)                                       // 0000000088DC: BF8CC77F
	v_mfma_i32_16x16x32_i8 v[192:195], a[96:97], v[128:129], 0 // 0000000088E0: D3D700C0 0A030160
	buffer_load_dwordx4 a[80:83], v33, s[20:23], 0 offen offset:1024// 0000000088E8: E05C1400 80855021
	s_waitcnt lgkmcnt(6)                                       // 0000000088F0: BF8CC67F
	v_mfma_i32_16x16x32_i8 v[192:195], a[98:99], v[130:131], v[192:195]// 0000000088F4: D3D700C0 0F030562
	s_waitcnt lgkmcnt(5)                                       // 0000000088FC: BF8CC57F
	v_mfma_i32_16x16x32_i8 v[192:195], a[100:101], v[132:133], v[192:195]// 000000008900: D3D700C0 0F030964
	s_waitcnt lgkmcnt(4)                                       // 000000008908: BF8CC47F
	v_mfma_i32_16x16x32_i8 v[192:195], a[102:103], v[134:135], v[192:195]// 00000000890C: D3D700C0 0F030D66
	s_waitcnt lgkmcnt(3)                                       // 000000008914: BF8CC37F
	v_mfma_i32_16x16x32_i8 v[192:195], a[104:105], v[136:137], v[192:195]// 000000008918: D3D700C0 0F031168
	buffer_load_dwordx4 a[84:87], v34, s[20:23], 0 offen offset:1024// 000000008920: E05C1400 80855422
	s_waitcnt lgkmcnt(2)                                       // 000000008928: BF8CC27F
	v_mfma_i32_16x16x32_i8 v[192:195], a[106:107], v[138:139], v[192:195]// 00000000892C: D3D700C0 0F03156A
	s_waitcnt lgkmcnt(1)                                       // 000000008934: BF8CC17F
	v_mfma_i32_16x16x32_i8 v[192:195], a[108:109], v[140:141], v[192:195]// 000000008938: D3D700C0 0F03196C
	s_waitcnt lgkmcnt(0)                                       // 000000008940: BF8CC07F
	v_mfma_i32_16x16x32_i8 v[192:195], a[110:111], v[142:143], v[192:195]// 000000008944: D3D700C0 0F031D6E
	v_mfma_i32_16x16x32_i8 v[196:199], a[112:113], v[128:129], 0// 00000000894C: D3D700C4 0A030170
	buffer_load_dwordx4 a[88:91], v35, s[20:23], 0 offen offset:1024// 000000008954: E05C1400 80855823
	v_mfma_i32_16x16x32_i8 v[196:199], a[114:115], v[130:131], v[196:199]// 00000000895C: D3D700C4 0F130572
	v_mfma_i32_16x16x32_i8 v[196:199], a[116:117], v[132:133], v[196:199]// 000000008964: D3D700C4 0F130974
	v_mfma_i32_16x16x32_i8 v[196:199], a[118:119], v[134:135], v[196:199]// 00000000896C: D3D700C4 0F130D76
	v_mfma_i32_16x16x32_i8 v[196:199], a[120:121], v[136:137], v[196:199]// 000000008974: D3D700C4 0F131178
	buffer_load_dwordx4 a[92:95], v36, s[20:23], 0 offen offset:1024// 00000000897C: E05C1400 80855C24
	v_mfma_i32_16x16x32_i8 v[196:199], a[122:123], v[138:139], v[196:199]// 000000008984: D3D700C4 0F13157A
	v_mfma_i32_16x16x32_i8 v[196:199], a[124:125], v[140:141], v[196:199]// 00000000898C: D3D700C4 0F13197C
	s_lshr_b32 s57, s70, 4                                     // 000000008994: 8F398446
	s_add_u32 s57, 48, s57                                     // 000000008998: 803939B0
	v_mfma_i32_16x16x32_i8 v[196:199], a[126:127], v[142:143], v[196:199]// 00000000899C: D3D700C4 0F131D7E
	s_cmp_ge_u32 s57, s73                                      // 0000000089A4: BF094939
	s_cselect_b32 s56, 0, s56                                  // 0000000089A8: 85383880
	v_add_u32_e32 v1, s56, v1                                  // 0000000089AC: 68020238
	s_addk_i32 s70, 0x100                                      // 0000000089B0: B7460100
	s_cmp_lt_i32 s70, s71                                      // 0000000089B4: BF044746
	s_cbranch_scc0 label_14F0                                  // 0000000089B8: BF84FB01
	s_branch label_14F3                                        // 0000000089BC: BF82FB03

00000000000089c0 <label_19F0>:
	s_lshr_b32 s60, s71, 4                                     // 0000000089C0: 8F3C8447
	s_cmp_eq_i32 s60, s73                                      // 0000000089C4: BF00493C
	s_cbranch_scc1 label_1F53                                  // 0000000089C8: BF850560
	s_lshr_b32 s60, s71, 8                                     // 0000000089CC: 8F3C8847
	s_and_b32 s60, s60, 1                                      // 0000000089D0: 863C813C
	s_cmp_eq_i32 s60, 1                                        // 0000000089D4: BF00813C
	s_cbranch_scc1 label_1CA5                                  // 0000000089D8: BF8502AE
	s_waitcnt vmcnt(8) lgkmcnt(0)                              // 0000000089DC: BF8C0078
	s_barrier                                                  // 0000000089E0: BF8A0000
	v_mfma_i32_16x16x32_i8 v[128:131], a[0:1], v[96:97], 0     // 0000000089E4: D3D70080 0A02C100
	v_mfma_i32_16x16x32_i8 v[128:131], a[2:3], v[98:99], v[128:131]// 0000000089EC: D3D70080 0E02C502
	v_mfma_i32_16x16x32_i8 v[128:131], a[4:5], v[100:101], v[128:131]// 0000000089F4: D3D70080 0E02C904
	v_mfma_i32_16x16x32_i8 v[128:131], a[6:7], v[102:103], v[128:131]// 0000000089FC: D3D70080 0E02CD06
	v_mfma_i32_16x16x32_i8 v[132:135], a[8:9], v[96:97], 0     // 000000008A04: D3D70084 0A02C108
	v_mfma_i32_16x16x32_i8 v[132:135], a[10:11], v[98:99], v[132:135]// 000000008A0C: D3D70084 0E12C50A
	v_mfma_i32_16x16x32_i8 v[132:135], a[12:13], v[100:101], v[132:135]// 000000008A14: D3D70084 0E12C90C
	v_mfma_i32_16x16x32_i8 v[132:135], a[14:15], v[102:103], v[132:135]// 000000008A1C: D3D70084 0E12CD0E
	v_mfma_i32_16x16x32_i8 v[136:139], a[16:17], v[96:97], 0   // 000000008A24: D3D70088 0A02C110
	v_mfma_i32_16x16x32_i8 v[136:139], a[18:19], v[98:99], v[136:139]// 000000008A2C: D3D70088 0E22C512
	v_mfma_i32_16x16x32_i8 v[136:139], a[20:21], v[100:101], v[136:139]// 000000008A34: D3D70088 0E22C914
	v_mfma_i32_16x16x32_i8 v[136:139], a[22:23], v[102:103], v[136:139]// 000000008A3C: D3D70088 0E22CD16
	v_mfma_i32_16x16x32_i8 v[140:143], a[24:25], v[96:97], 0   // 000000008A44: D3D7008C 0A02C118
	v_mfma_i32_16x16x32_i8 v[140:143], a[26:27], v[98:99], v[140:143]// 000000008A4C: D3D7008C 0E32C51A
	v_mfma_i32_16x16x32_i8 v[140:143], a[28:29], v[100:101], v[140:143]// 000000008A54: D3D7008C 0E32C91C
	v_mfma_i32_16x16x32_i8 v[140:143], a[30:31], v[102:103], v[140:143]// 000000008A5C: D3D7008C 0E32CD1E
	v_mov_b32_dpp v41, v52 row_shr:4 row_mask:0xf bank_mask:0xf// 000000008A64: 7E5202FA FF011434
	v_mov_b32_dpp v42, v52 row_shl:4 row_mask:0xf bank_mask:0xf// 000000008A6C: 7E5402FA FF010434
	v_cndmask_b32_e64 v248, v52, v41, s[44:45]                 // 000000008A74: D10000F8 00B25334
	v_cndmask_b32_e64 v249, v42, v52, s[44:45]                 // 000000008A7C: D10000F9 00B2692A
	v_mov_b32_dpp v41, v248 row_shr:8 row_mask:0xf bank_mask:0xf// 000000008A84: 7E5202FA FF0118F8
	v_mov_b32_dpp v42, v248 row_shl:8 row_mask:0xf bank_mask:0xf// 000000008A8C: 7E5402FA FF0108F8
	v_mov_b32_dpp v43, v249 row_shr:8 row_mask:0xf bank_mask:0xf// 000000008A94: 7E5602FA FF0118F9
	v_mov_b32_dpp v44, v249 row_shl:8 row_mask:0xf bank_mask:0xf// 000000008A9C: 7E5802FA FF0108F9
	v_mov_b32_e32 v45, v248                                    // 000000008AA4: 7E5A03F8
	v_mov_b32_e32 v46, v249                                    // 000000008AA8: 7E5C03F9
	v_cndmask_b32_e64 v248, v45, v41, s[42:43]                 // 000000008AAC: D10000F8 00AA532D
	v_cndmask_b32_e64 v250, v45, v42, s[78:79]                 // 000000008AB4: D10000FA 013A552D
	v_cndmask_b32_e64 v249, v46, v43, s[42:43]                 // 000000008ABC: D10000F9 00AA572E
	v_cndmask_b32_e64 v251, v46, v44, s[78:79]                 // 000000008AC4: D10000FB 013A592E
	v_mov_b32_dpp v41, v72 row_shr:4 row_mask:0xf bank_mask:0xf// 000000008ACC: 7E5202FA FF011448
	v_mov_b32_dpp v42, v72 row_shl:4 row_mask:0xf bank_mask:0xf// 000000008AD4: 7E5402FA FF010448
	v_cndmask_b32_e64 v252, v72, v41, s[44:45]                 // 000000008ADC: D10000FC 00B25348
	v_cndmask_b32_e64 v253, v42, v72, s[44:45]                 // 000000008AE4: D10000FD 00B2912A
	v_mov_b32_dpp v41, v252 row_shr:8 row_mask:0xf bank_mask:0xf// 000000008AEC: 7E5202FA FF0118FC
	v_mov_b32_dpp v42, v252 row_shl:8 row_mask:0xf bank_mask:0xf// 000000008AF4: 7E5402FA FF0108FC
	v_mov_b32_dpp v43, v253 row_shr:8 row_mask:0xf bank_mask:0xf// 000000008AFC: 7E5602FA FF0118FD
	v_mov_b32_dpp v44, v253 row_shl:8 row_mask:0xf bank_mask:0xf// 000000008B04: 7E5802FA FF0108FD
	v_mov_b32_e32 v45, v252                                    // 000000008B0C: 7E5A03FC
	v_mov_b32_e32 v46, v253                                    // 000000008B10: 7E5C03FD
	v_cndmask_b32_e64 v252, v45, v41, s[42:43]                 // 000000008B14: D10000FC 00AA532D
	v_cndmask_b32_e64 v254, v45, v42, s[78:79]                 // 000000008B1C: D10000FE 013A552D
	v_cndmask_b32_e64 v253, v46, v43, s[42:43]                 // 000000008B24: D10000FD 00AA572E
	v_cndmask_b32_e64 v255, v46, v44, s[78:79]                 // 000000008B2C: D10000FF 013A592E
	v_cvt_f32_i32_e32 v128, v128                               // 000000008B34: 7F000B80
	v_cvt_f32_i32_e32 v129, v129                               // 000000008B38: 7F020B81
	v_cvt_f32_i32_e32 v130, v130                               // 000000008B3C: 7F040B82
	v_cvt_f32_i32_e32 v131, v131                               // 000000008B40: 7F060B83
	v_cvt_f32_i32_e32 v132, v132                               // 000000008B44: 7F080B84
	v_cvt_f32_i32_e32 v133, v133                               // 000000008B48: 7F0A0B85
	v_cvt_f32_i32_e32 v134, v134                               // 000000008B4C: 7F0C0B86
	v_cvt_f32_i32_e32 v135, v135                               // 000000008B50: 7F0E0B87
	v_cvt_f32_i32_e32 v136, v136                               // 000000008B54: 7F100B88
	v_cvt_f32_i32_e32 v137, v137                               // 000000008B58: 7F120B89
	v_cvt_f32_i32_e32 v138, v138                               // 000000008B5C: 7F140B8A
	v_cvt_f32_i32_e32 v139, v139                               // 000000008B60: 7F160B8B
	v_cvt_f32_i32_e32 v140, v140                               // 000000008B64: 7F180B8C
	v_cvt_f32_i32_e32 v141, v141                               // 000000008B68: 7F1A0B8D
	v_cvt_f32_i32_e32 v142, v142                               // 000000008B6C: 7F1C0B8E
	v_cvt_f32_i32_e32 v143, v143                               // 000000008B70: 7F1E0B8F
	v_mul_f32_e32 v128, v54, v128                              // 000000008B74: 0B010136
	v_mul_f32_e32 v129, v54, v129                              // 000000008B78: 0B030336
	v_mul_f32_e32 v130, v54, v130                              // 000000008B7C: 0B050536
	v_mul_f32_e32 v131, v54, v131                              // 000000008B80: 0B070736
	v_mul_f32_e32 v132, v54, v132                              // 000000008B84: 0B090936
	v_mul_f32_e32 v133, v54, v133                              // 000000008B88: 0B0B0B36
	v_mul_f32_e32 v134, v54, v134                              // 000000008B8C: 0B0D0D36
	v_mul_f32_e32 v135, v54, v135                              // 000000008B90: 0B0F0F36
	v_mul_f32_e32 v136, v54, v136                              // 000000008B94: 0B111136
	v_mul_f32_e32 v137, v54, v137                              // 000000008B98: 0B131336
	v_mul_f32_e32 v138, v54, v138                              // 000000008B9C: 0B151536
	v_mul_f32_e32 v139, v54, v139                              // 000000008BA0: 0B171736
	v_mul_f32_e32 v140, v54, v140                              // 000000008BA4: 0B191936
	v_mul_f32_e32 v141, v54, v141                              // 000000008BA8: 0B1B1B36
	v_mul_f32_e32 v142, v54, v142                              // 000000008BAC: 0B1D1D36
	v_mul_f32_e32 v143, v54, v143                              // 000000008BB0: 0B1F1F36
	v_mul_f32_dpp v128, v248, v128 quad_perm:[0,0,0,0] row_mask:0xf bank_mask:0xf// 000000008BB4: 0B0100FA FF0000F8
	v_mul_f32_dpp v129, v248, v129 quad_perm:[1,1,1,1] row_mask:0xf bank_mask:0xf// 000000008BBC: 0B0302FA FF0055F8
	v_mul_f32_dpp v130, v248, v130 quad_perm:[2,2,2,2] row_mask:0xf bank_mask:0xf// 000000008BC4: 0B0504FA FF00AAF8
	v_mul_f32_dpp v131, v248, v131 quad_perm:[3,3,3,3] row_mask:0xf bank_mask:0xf// 000000008BCC: 0B0706FA FF00FFF8
	v_mul_f32_dpp v132, v249, v132 quad_perm:[0,0,0,0] row_mask:0xf bank_mask:0xf// 000000008BD4: 0B0908FA FF0000F9
	v_mul_f32_dpp v133, v249, v133 quad_perm:[1,1,1,1] row_mask:0xf bank_mask:0xf// 000000008BDC: 0B0B0AFA FF0055F9
	v_mul_f32_dpp v134, v249, v134 quad_perm:[2,2,2,2] row_mask:0xf bank_mask:0xf// 000000008BE4: 0B0D0CFA FF00AAF9
	v_mul_f32_dpp v135, v249, v135 quad_perm:[3,3,3,3] row_mask:0xf bank_mask:0xf// 000000008BEC: 0B0F0EFA FF00FFF9
	v_mul_f32_dpp v136, v250, v136 quad_perm:[0,0,0,0] row_mask:0xf bank_mask:0xf// 000000008BF4: 0B1110FA FF0000FA
	v_mul_f32_dpp v137, v250, v137 quad_perm:[1,1,1,1] row_mask:0xf bank_mask:0xf// 000000008BFC: 0B1312FA FF0055FA
	v_mul_f32_dpp v138, v250, v138 quad_perm:[2,2,2,2] row_mask:0xf bank_mask:0xf// 000000008C04: 0B1514FA FF00AAFA
	v_mul_f32_dpp v139, v250, v139 quad_perm:[3,3,3,3] row_mask:0xf bank_mask:0xf// 000000008C0C: 0B1716FA FF00FFFA
	v_mul_f32_dpp v140, v251, v140 quad_perm:[0,0,0,0] row_mask:0xf bank_mask:0xf// 000000008C14: 0B1918FA FF0000FB
	v_mul_f32_dpp v141, v251, v141 quad_perm:[1,1,1,1] row_mask:0xf bank_mask:0xf// 000000008C1C: 0B1B1AFA FF0055FB
	v_mul_f32_dpp v142, v251, v142 quad_perm:[2,2,2,2] row_mask:0xf bank_mask:0xf// 000000008C24: 0B1D1CFA FF00AAFB
	v_mul_f32_dpp v143, v251, v143 quad_perm:[3,3,3,3] row_mask:0xf bank_mask:0xf// 000000008C2C: 0B1F1EFA FF00FFFB
	s_and_b32 s60, s72, 0xff                                   // 000000008C34: 863CFF48 000000FF
	v_mov_b32_e32 v42, s60                                     // 000000008C3C: 7E54023C
	v_lshrrev_b32_e32 v240, 4, v0                              // 000000008C40: 21E00084
	v_mul_i32_i24_e32 v240, 4, v240                            // 000000008C44: 0DE1E084
	s_mul_i32 s60, s7, 16                                      // 000000008C48: 923C9007
	v_add_u32_e32 v240, s60, v240                              // 000000008C4C: 69E1E03C
	v_add_u32_e32 v241, 1, v240                                // 000000008C50: 69E3E081
	v_add_u32_e32 v242, 2, v240                                // 000000008C54: 69E5E082
	v_add_u32_e32 v243, 3, v240                                // 000000008C58: 69E7E083
	v_mov_b32_e32 v41, 0xff800000                              // 000000008C5C: 7E5202FF FF800000
	v_cmp_lt_u32_e64 s[40:41], v240, v42                       // 000000008C64: D0C90028 000255F0
	v_add_u32_e32 v240, 64, v240                               // 000000008C6C: 69E1E0C0
	s_nop 0                                                    // 000000008C70: BF800000
	v_cndmask_b32_e64 v128, v41, v128, s[40:41]                // 000000008C74: D1000080 00A30129
	v_cmp_lt_u32_e64 s[40:41], v241, v42                       // 000000008C7C: D0C90028 000255F1
	v_add_u32_e32 v241, 64, v241                               // 000000008C84: 69E3E2C0
	s_nop 0                                                    // 000000008C88: BF800000
	v_cndmask_b32_e64 v129, v41, v129, s[40:41]                // 000000008C8C: D1000081 00A30329
	v_cmp_lt_u32_e64 s[40:41], v242, v42                       // 000000008C94: D0C90028 000255F2
	v_add_u32_e32 v242, 64, v242                               // 000000008C9C: 69E5E4C0
	s_nop 0                                                    // 000000008CA0: BF800000
	v_cndmask_b32_e64 v130, v41, v130, s[40:41]                // 000000008CA4: D1000082 00A30529
	v_cmp_lt_u32_e64 s[40:41], v243, v42                       // 000000008CAC: D0C90028 000255F3
	v_add_u32_e32 v243, 64, v243                               // 000000008CB4: 69E7E6C0
	s_nop 0                                                    // 000000008CB8: BF800000
	v_cndmask_b32_e64 v131, v41, v131, s[40:41]                // 000000008CBC: D1000083 00A30729
	v_cmp_lt_u32_e64 s[40:41], v240, v42                       // 000000008CC4: D0C90028 000255F0
	v_add_u32_e32 v240, 64, v240                               // 000000008CCC: 69E1E0C0
	s_nop 0                                                    // 000000008CD0: BF800000
	v_cndmask_b32_e64 v132, v41, v132, s[40:41]                // 000000008CD4: D1000084 00A30929
	v_cmp_lt_u32_e64 s[40:41], v241, v42                       // 000000008CDC: D0C90028 000255F1
	v_add_u32_e32 v241, 64, v241                               // 000000008CE4: 69E3E2C0
	s_nop 0                                                    // 000000008CE8: BF800000
	v_cndmask_b32_e64 v133, v41, v133, s[40:41]                // 000000008CEC: D1000085 00A30B29
	v_cmp_lt_u32_e64 s[40:41], v242, v42                       // 000000008CF4: D0C90028 000255F2
	v_add_u32_e32 v242, 64, v242                               // 000000008CFC: 69E5E4C0
	s_nop 0                                                    // 000000008D00: BF800000
	v_cndmask_b32_e64 v134, v41, v134, s[40:41]                // 000000008D04: D1000086 00A30D29
	v_cmp_lt_u32_e64 s[40:41], v243, v42                       // 000000008D0C: D0C90028 000255F3
	v_add_u32_e32 v243, 64, v243                               // 000000008D14: 69E7E6C0
	s_nop 0                                                    // 000000008D18: BF800000
	v_cndmask_b32_e64 v135, v41, v135, s[40:41]                // 000000008D1C: D1000087 00A30F29
	v_cmp_lt_u32_e64 s[40:41], v240, v42                       // 000000008D24: D0C90028 000255F0
	v_add_u32_e32 v240, 64, v240                               // 000000008D2C: 69E1E0C0
	s_nop 0                                                    // 000000008D30: BF800000
	v_cndmask_b32_e64 v136, v41, v136, s[40:41]                // 000000008D34: D1000088 00A31129
	v_cmp_lt_u32_e64 s[40:41], v241, v42                       // 000000008D3C: D0C90028 000255F1
	v_add_u32_e32 v241, 64, v241                               // 000000008D44: 69E3E2C0
	s_nop 0                                                    // 000000008D48: BF800000
	v_cndmask_b32_e64 v137, v41, v137, s[40:41]                // 000000008D4C: D1000089 00A31329
	v_cmp_lt_u32_e64 s[40:41], v242, v42                       // 000000008D54: D0C90028 000255F2
	v_add_u32_e32 v242, 64, v242                               // 000000008D5C: 69E5E4C0
	s_nop 0                                                    // 000000008D60: BF800000
	v_cndmask_b32_e64 v138, v41, v138, s[40:41]                // 000000008D64: D100008A 00A31529
	v_cmp_lt_u32_e64 s[40:41], v243, v42                       // 000000008D6C: D0C90028 000255F3
	v_add_u32_e32 v243, 64, v243                               // 000000008D74: 69E7E6C0
	s_nop 0                                                    // 000000008D78: BF800000
	v_cndmask_b32_e64 v139, v41, v139, s[40:41]                // 000000008D7C: D100008B 00A31729
	v_cmp_lt_u32_e64 s[40:41], v240, v42                       // 000000008D84: D0C90028 000255F0
	v_add_u32_e32 v240, 64, v240                               // 000000008D8C: 69E1E0C0
	s_nop 0                                                    // 000000008D90: BF800000
	v_cndmask_b32_e64 v140, v41, v140, s[40:41]                // 000000008D94: D100008C 00A31929
	v_cmp_lt_u32_e64 s[40:41], v241, v42                       // 000000008D9C: D0C90028 000255F1
	v_add_u32_e32 v241, 64, v241                               // 000000008DA4: 69E3E2C0
	s_nop 0                                                    // 000000008DA8: BF800000
	v_cndmask_b32_e64 v141, v41, v141, s[40:41]                // 000000008DAC: D100008D 00A31B29
	v_cmp_lt_u32_e64 s[40:41], v242, v42                       // 000000008DB4: D0C90028 000255F2
	v_add_u32_e32 v242, 64, v242                               // 000000008DBC: 69E5E4C0
	s_nop 0                                                    // 000000008DC0: BF800000
	v_cndmask_b32_e64 v142, v41, v142, s[40:41]                // 000000008DC4: D100008E 00A31D29
	v_cmp_lt_u32_e64 s[40:41], v243, v42                       // 000000008DCC: D0C90028 000255F3
	v_add_u32_e32 v243, 64, v243                               // 000000008DD4: 69E7E6C0
	s_nop 0                                                    // 000000008DD8: BF800000
	v_cndmask_b32_e64 v143, v41, v143, s[40:41]                // 000000008DDC: D100008F 00A31F29
	v_mov_b32_e32 v62, v128                                    // 000000008DE4: 7E7C0380
	v_max3_f32 v62, v128, v129, v62                            // 000000008DE8: D1D3003E 04FB0380
	v_max3_f32 v62, v130, v131, v62                            // 000000008DF0: D1D3003E 04FB0782
	v_max3_f32 v62, v132, v133, v62                            // 000000008DF8: D1D3003E 04FB0B84
	v_max3_f32 v62, v134, v135, v62                            // 000000008E00: D1D3003E 04FB0F86
	v_max3_f32 v62, v136, v137, v62                            // 000000008E08: D1D3003E 04FB1388
	v_max3_f32 v62, v138, v139, v62                            // 000000008E10: D1D3003E 04FB178A
	v_max3_f32 v62, v140, v141, v62                            // 000000008E18: D1D3003E 04FB1B8C
	v_max3_f32 v62, v142, v143, v62                            // 000000008E20: D1D3003E 04FB1F8E
	ds_write_b32 v11, v62 offset:16896                         // 000000008E28: D81A4200 00003E0B
	v_mul_u32_u24_dpp v41, v20, v68 row_newbcast:1 row_mask:0xf bank_mask:0xf// 000000008E30: 105288FA FF015114
	v_mul_u32_u24_dpp v42, v20, v68 row_newbcast:5 row_mask:0xf bank_mask:0xf// 000000008E38: 105488FA FF015514
	v_mul_u32_u24_dpp v43, v20, v68 row_newbcast:9 row_mask:0xf bank_mask:0xf// 000000008E40: 105688FA FF015914
	v_mul_u32_u24_dpp v44, v20, v68 row_newbcast:13 row_mask:0xf bank_mask:0xf// 000000008E48: 105888FA FF015D14
	v_add_u32_e32 v37, v41, v7                                 // 000000008E50: 684A0F29
	v_add_u32_e32 v38, v42, v7                                 // 000000008E54: 684C0F2A
	v_add_u32_e32 v39, v43, v7                                 // 000000008E58: 684E0F2B
	v_add_u32_e32 v40, v44, v7                                 // 000000008E5C: 68500F2C
	v_mul_f32_e32 v224, v63, v224                              // 000000008E60: 0BC1C13F
	v_mul_f32_e32 v225, v63, v225                              // 000000008E64: 0BC3C33F
	v_mul_f32_e32 v226, v63, v226                              // 000000008E68: 0BC5C53F
	v_mul_f32_e32 v227, v63, v227                              // 000000008E6C: 0BC7C73F
	v_mul_f32_e32 v228, v63, v228                              // 000000008E70: 0BC9C93F
	v_mul_f32_e32 v229, v63, v229                              // 000000008E74: 0BCBCB3F
	v_mul_f32_e32 v230, v63, v230                              // 000000008E78: 0BCDCD3F
	v_mul_f32_e32 v231, v63, v231                              // 000000008E7C: 0BCFCF3F
	s_waitcnt lgkmcnt(0)                                       // 000000008E80: BF8CC07F
	s_barrier                                                  // 000000008E84: BF8A0000
	ds_read_b32 v80, v10 offset:16896                          // 000000008E88: D86C4200 5000000A
	ds_read_b32 v81, v10 offset:16960                          // 000000008E90: D86C4240 5100000A
	ds_read_b32 v82, v10 offset:17024                          // 000000008E98: D86C4280 5200000A
	ds_read_b32 v83, v10 offset:17088                          // 000000008EA0: D86C42C0 5300000A
	ds_read_b32 v84, v10 offset:17152                          // 000000008EA8: D86C4300 5400000A
	ds_read_b32 v85, v10 offset:17216                          // 000000008EB0: D86C4340 5500000A
	ds_read_b32 v86, v10 offset:17280                          // 000000008EB8: D86C4380 5600000A
	ds_read_b32 v87, v10 offset:17344                          // 000000008EC0: D86C43C0 5700000A
	ds_read_b32 v88, v10 offset:17408                          // 000000008EC8: D86C4400 5800000A
	ds_read_b32 v89, v10 offset:17472                          // 000000008ED0: D86C4440 5900000A
	ds_read_b32 v90, v10 offset:17536                          // 000000008ED8: D86C4480 5A00000A
	ds_read_b32 v91, v10 offset:17600                          // 000000008EE0: D86C44C0 5B00000A
	ds_read_b32 v92, v10 offset:17664                          // 000000008EE8: D86C4500 5C00000A
	ds_read_b32 v93, v10 offset:17728                          // 000000008EF0: D86C4540 5D00000A
	ds_read_b32 v94, v10 offset:17792                          // 000000008EF8: D86C4580 5E00000A
	ds_read_b32 v95, v10 offset:17856                          // 000000008F00: D86C45C0 5F00000A
	v_cvt_f32_i32_e32 v192, v192                               // 000000008F08: 7F800BC0
	v_cvt_f32_i32_e32 v193, v193                               // 000000008F0C: 7F820BC1
	v_cvt_f32_i32_e32 v194, v194                               // 000000008F10: 7F840BC2
	v_cvt_f32_i32_e32 v195, v195                               // 000000008F14: 7F860BC3
	v_cvt_f32_i32_e32 v196, v196                               // 000000008F18: 7F880BC4
	v_cvt_f32_i32_e32 v197, v197                               // 000000008F1C: 7F8A0BC5
	v_cvt_f32_i32_e32 v198, v198                               // 000000008F20: 7F8C0BC6
	v_cvt_f32_i32_e32 v199, v199                               // 000000008F24: 7F8E0BC7
	v_mul_f32_e32 v192, v58, v192                              // 000000008F28: 0B81813A
	v_mul_f32_e32 v193, v58, v193                              // 000000008F2C: 0B83833A
	v_mul_f32_e32 v194, v58, v194                              // 000000008F30: 0B85853A
	v_mul_f32_e32 v195, v58, v195                              // 000000008F34: 0B87873A
	v_mul_f32_e32 v196, v58, v196                              // 000000008F38: 0B89893A
	v_mul_f32_e32 v197, v58, v197                              // 000000008F3C: 0B8B8B3A
	v_mul_f32_e32 v198, v58, v198                              // 000000008F40: 0B8D8D3A
	v_mul_f32_e32 v199, v58, v199                              // 000000008F44: 0B8F8F3A
	s_waitcnt lgkmcnt(0)                                       // 000000008F48: BF8CC07F
	v_max3_f32 v62, v80, v81, v62                              // 000000008F4C: D1D3003E 04FAA350
	v_max3_f32 v62, v82, v83, v62                              // 000000008F54: D1D3003E 04FAA752
	v_max3_f32 v62, v84, v85, v62                              // 000000008F5C: D1D3003E 04FAAB54
	v_max3_f32 v62, v86, v87, v62                              // 000000008F64: D1D3003E 04FAAF56
	v_max3_f32 v62, v88, v89, v62                              // 000000008F6C: D1D3003E 04FAB358
	v_max3_f32 v62, v90, v91, v62                              // 000000008F74: D1D3003E 04FAB75A
	v_max3_f32 v62, v92, v93, v62                              // 000000008F7C: D1D3003E 04FABB5C
	v_max3_f32 v62, v94, v95, v62                              // 000000008F84: D1D3003E 04FABF5E
	v_mov_b32_e32 v41, 0xff800000                              // 000000008F8C: 7E5202FF FF800000
	v_cmp_eq_u32_e64 s[40:41], v41, v14                        // 000000008F94: D0CA0028 00021D29
	s_nop 1                                                    // 000000008F9C: BF800001
	v_max_f32_e32 v18, v62, v14                                // 000000008FA0: 16241D3E
	v_mul_f32_e32 v67, s64, v18                                // 000000008FA4: 0A862440
	v_fma_f32 v128, v128, s64, -v67                            // 000000008FA8: D1CB0080 850C8180
	v_fma_f32 v129, v129, s64, -v67                            // 000000008FB0: D1CB0081 850C8181
	v_fma_f32 v130, v130, s64, -v67                            // 000000008FB8: D1CB0082 850C8182
	v_fma_f32 v131, v131, s64, -v67                            // 000000008FC0: D1CB0083 850C8183
	v_fma_f32 v132, v132, s64, -v67                            // 000000008FC8: D1CB0084 850C8184
	v_fma_f32 v133, v133, s64, -v67                            // 000000008FD0: D1CB0085 850C8185
	v_fma_f32 v134, v134, s64, -v67                            // 000000008FD8: D1CB0086 850C8186
	v_fma_f32 v135, v135, s64, -v67                            // 000000008FE0: D1CB0087 850C8187
	v_fma_f32 v136, v136, s64, -v67                            // 000000008FE8: D1CB0088 850C8188
	v_fma_f32 v137, v137, s64, -v67                            // 000000008FF0: D1CB0089 850C8189
	v_fma_f32 v138, v138, s64, -v67                            // 000000008FF8: D1CB008A 850C818A
	v_fma_f32 v139, v139, s64, -v67                            // 000000009000: D1CB008B 850C818B
	v_fma_f32 v140, v140, s64, -v67                            // 000000009008: D1CB008C 850C818C
	v_fma_f32 v141, v141, s64, -v67                            // 000000009010: D1CB008D 850C818D
	v_fma_f32 v142, v142, s64, -v67                            // 000000009018: D1CB008E 850C818E
	v_fma_f32 v143, v143, s64, -v67                            // 000000009020: D1CB008F 850C818F
	v_exp_f32_e32 v128, v128                                   // 000000009028: 7F004180
	v_exp_f32_e32 v129, v129                                   // 00000000902C: 7F024181
	v_exp_f32_e32 v130, v130                                   // 000000009030: 7F044182
	v_exp_f32_e32 v131, v131                                   // 000000009034: 7F064183
	v_exp_f32_e32 v132, v132                                   // 000000009038: 7F084184
	v_exp_f32_e32 v133, v133                                   // 00000000903C: 7F0A4185
	v_exp_f32_e32 v134, v134                                   // 000000009040: 7F0C4186
	v_exp_f32_e32 v135, v135                                   // 000000009044: 7F0E4187
	v_exp_f32_e32 v136, v136                                   // 000000009048: 7F104188
	v_exp_f32_e32 v137, v137                                   // 00000000904C: 7F124189
	v_exp_f32_e32 v138, v138                                   // 000000009050: 7F14418A
	v_exp_f32_e32 v139, v139                                   // 000000009054: 7F16418B
	v_exp_f32_e32 v140, v140                                   // 000000009058: 7F18418C
	v_exp_f32_e32 v141, v141                                   // 00000000905C: 7F1A418D
	v_exp_f32_e32 v142, v142                                   // 000000009060: 7F1C418E
	v_exp_f32_e32 v143, v143                                   // 000000009064: 7F1E418F
	v_mul_f32_dpp v240, v252, v128 quad_perm:[0,0,0,0] row_mask:0xf bank_mask:0xf// 000000009068: 0BE100FA FF0000FC
	v_mul_f32_dpp v241, v252, v129 quad_perm:[1,1,1,1] row_mask:0xf bank_mask:0xf// 000000009070: 0BE302FA FF0055FC
	v_mul_f32_dpp v242, v252, v130 quad_perm:[2,2,2,2] row_mask:0xf bank_mask:0xf// 000000009078: 0BE504FA FF00AAFC
	v_mul_f32_dpp v243, v252, v131 quad_perm:[3,3,3,3] row_mask:0xf bank_mask:0xf// 000000009080: 0BE706FA FF00FFFC
	v_mul_f32_dpp v244, v253, v132 quad_perm:[0,0,0,0] row_mask:0xf bank_mask:0xf// 000000009088: 0BE908FA FF0000FD
	v_mul_f32_dpp v245, v253, v133 quad_perm:[1,1,1,1] row_mask:0xf bank_mask:0xf// 000000009090: 0BEB0AFA FF0055FD
	v_mul_f32_dpp v246, v253, v134 quad_perm:[2,2,2,2] row_mask:0xf bank_mask:0xf// 000000009098: 0BED0CFA FF00AAFD
	v_mul_f32_dpp v247, v253, v135 quad_perm:[3,3,3,3] row_mask:0xf bank_mask:0xf// 0000000090A0: 0BEF0EFA FF00FFFD
	v_mul_f32_dpp v248, v254, v136 quad_perm:[0,0,0,0] row_mask:0xf bank_mask:0xf// 0000000090A8: 0BF110FA FF0000FE
	v_mul_f32_dpp v249, v254, v137 quad_perm:[1,1,1,1] row_mask:0xf bank_mask:0xf// 0000000090B0: 0BF312FA FF0055FE
	v_mul_f32_dpp v250, v254, v138 quad_perm:[2,2,2,2] row_mask:0xf bank_mask:0xf// 0000000090B8: 0BF514FA FF00AAFE
	v_mul_f32_dpp v251, v254, v139 quad_perm:[3,3,3,3] row_mask:0xf bank_mask:0xf// 0000000090C0: 0BF716FA FF00FFFE
	v_mul_f32_dpp v252, v255, v140 quad_perm:[0,0,0,0] row_mask:0xf bank_mask:0xf// 0000000090C8: 0BF918FA FF0000FF
	v_mul_f32_dpp v253, v255, v141 quad_perm:[1,1,1,1] row_mask:0xf bank_mask:0xf// 0000000090D0: 0BFB1AFA FF0055FF
	v_mul_f32_dpp v254, v255, v142 quad_perm:[2,2,2,2] row_mask:0xf bank_mask:0xf// 0000000090D8: 0BFD1CFA FF00AAFF
	v_mul_f32_dpp v255, v255, v143 quad_perm:[3,3,3,3] row_mask:0xf bank_mask:0xf// 0000000090E0: 0BFF1EFA FF00FFFF
	v_mov_b32_e32 v62, 0x358637bd                              // 0000000090E8: 7E7C02FF 358637BD
	v_max3_f32 v62, |v240|, |v241|, v62                        // 0000000090F0: D1D3033E 04FBE3F0
	v_max3_f32 v62, |v242|, |v243|, v62                        // 0000000090F8: D1D3033E 04FBE7F2
	v_max3_f32 v62, |v244|, |v245|, v62                        // 000000009100: D1D3033E 04FBEBF4
	v_max3_f32 v62, |v246|, |v247|, v62                        // 000000009108: D1D3033E 04FBEFF6
	v_max3_f32 v62, |v248|, |v249|, v62                        // 000000009110: D1D3033E 04FBF3F8
	v_max3_f32 v62, |v250|, |v251|, v62                        // 000000009118: D1D3033E 04FBF7FA
	v_max3_f32 v62, |v252|, |v253|, v62                        // 000000009120: D1D3033E 04FBFBFC
	v_max3_f32 v62, |v254|, |v255|, v62                        // 000000009128: D1D3033E 04FBFFFE
	ds_write_b32 v11, v62 offset:20992                         // 000000009130: D81A5200 00003E0B
	v_sub_f32_e32 v63, v14, v18                                // 000000009138: 047E250E
	v_cndmask_b32_e64 v63, v63, 0, s[40:41]                    // 00000000913C: D100003F 00A1013F
	v_mov_b32_e32 v14, v18                                     // 000000009144: 7E1C0312
	v_mul_f32_e32 v63, s64, v63                                // 000000009148: 0A7E7E40
	v_exp_f32_e32 v63, v63                                     // 00000000914C: 7E7E413F
	s_waitcnt lgkmcnt(0)                                       // 000000009150: BF8CC07F
	s_barrier                                                  // 000000009154: BF8A0000
	ds_read_b32 v80, v10 offset:20992                          // 000000009158: D86C5200 5000000A
	ds_read_b32 v81, v10 offset:21056                          // 000000009160: D86C5240 5100000A
	ds_read_b32 v82, v10 offset:21120                          // 000000009168: D86C5280 5200000A
	ds_read_b32 v83, v10 offset:21184                          // 000000009170: D86C52C0 5300000A
	ds_read_b32 v84, v10 offset:21248                          // 000000009178: D86C5300 5400000A
	ds_read_b32 v85, v10 offset:21312                          // 000000009180: D86C5340 5500000A
	ds_read_b32 v86, v10 offset:21376                          // 000000009188: D86C5380 5600000A
	ds_read_b32 v87, v10 offset:21440                          // 000000009190: D86C53C0 5700000A
	ds_read_b32 v88, v10 offset:21504                          // 000000009198: D86C5400 5800000A
	ds_read_b32 v89, v10 offset:21568                          // 0000000091A0: D86C5440 5900000A
	ds_read_b32 v90, v10 offset:21632                          // 0000000091A8: D86C5480 5A00000A
	ds_read_b32 v91, v10 offset:21696                          // 0000000091B0: D86C54C0 5B00000A
	ds_read_b32 v92, v10 offset:21760                          // 0000000091B8: D86C5500 5C00000A
	ds_read_b32 v93, v10 offset:21824                          // 0000000091C0: D86C5540 5D00000A
	ds_read_b32 v94, v10 offset:21888                          // 0000000091C8: D86C5580 5E00000A
	ds_read_b32 v95, v10 offset:21952                          // 0000000091D0: D86C55C0 5F00000A
	v_mul_f32_e32 v47, v63, v47                                // 0000000091D8: 0A5E5F3F
	v_mov_b32_e32 v18, v128                                    // 0000000091DC: 7E240380
	v_add_f32_e32 v18, v129, v18                               // 0000000091E0: 02242581
	v_add_f32_e32 v18, v130, v18                               // 0000000091E4: 02242582
	v_add_f32_e32 v18, v131, v18                               // 0000000091E8: 02242583
	v_add_f32_e32 v18, v132, v18                               // 0000000091EC: 02242584
	v_add_f32_e32 v18, v133, v18                               // 0000000091F0: 02242585
	v_add_f32_e32 v18, v134, v18                               // 0000000091F4: 02242586
	v_add_f32_e32 v18, v135, v18                               // 0000000091F8: 02242587
	v_add_f32_e32 v18, v136, v18                               // 0000000091FC: 02242588
	v_add_f32_e32 v18, v137, v18                               // 000000009200: 02242589
	v_add_f32_e32 v18, v138, v18                               // 000000009204: 0224258A
	v_add_f32_e32 v18, v139, v18                               // 000000009208: 0224258B
	v_add_f32_e32 v18, v140, v18                               // 00000000920C: 0224258C
	v_add_f32_e32 v18, v141, v18                               // 000000009210: 0224258D
	v_add_f32_e32 v18, v142, v18                               // 000000009214: 0224258E
	v_add_f32_e32 v18, v143, v18                               // 000000009218: 0224258F
	v_add_f32_e32 v47, v18, v47                                // 00000000921C: 025E5F12
	s_waitcnt lgkmcnt(0)                                       // 000000009220: BF8CC07F
	v_max3_f32 v62, |v80|, |v81|, v62                          // 000000009224: D1D3033E 04FAA350
	v_max3_f32 v62, |v82|, |v83|, v62                          // 00000000922C: D1D3033E 04FAA752
	v_max3_f32 v62, |v84|, |v85|, v62                          // 000000009234: D1D3033E 04FAAB54
	v_max3_f32 v62, |v86|, |v87|, v62                          // 00000000923C: D1D3033E 04FAAF56
	v_max3_f32 v62, |v88|, |v89|, v62                          // 000000009244: D1D3033E 04FAB358
	v_max3_f32 v62, |v90|, |v91|, v62                          // 00000000924C: D1D3033E 04FAB75A
	v_max3_f32 v62, |v92|, |v93|, v62                          // 000000009254: D1D3033E 04FABB5C
	v_max3_f32 v62, |v94|, |v95|, v62                          // 00000000925C: D1D3033E 04FABF5E
	s_nop 2                                                    // 000000009264: BF800002
	v_rcp_f32_e32 v62, v62                                     // 000000009268: 7E7C453E
	s_nop 1                                                    // 00000000926C: BF800001
	v_mul_f32_e32 v62, 0x42fe0000, v62                         // 000000009270: 0A7C7CFF 42FE0000
	v_mul_f32_e32 v128, v62, v240                              // 000000009278: 0B01E13E
	v_mul_f32_e32 v129, v62, v241                              // 00000000927C: 0B03E33E
	v_mul_f32_e32 v130, v62, v242                              // 000000009280: 0B05E53E
	v_mul_f32_e32 v131, v62, v243                              // 000000009284: 0B07E73E
	v_mul_f32_e32 v132, v62, v244                              // 000000009288: 0B09E93E
	v_mul_f32_e32 v133, v62, v245                              // 00000000928C: 0B0BEB3E
	v_mul_f32_e32 v134, v62, v246                              // 000000009290: 0B0DED3E
	v_mul_f32_e32 v135, v62, v247                              // 000000009294: 0B0FEF3E
	v_mul_f32_e32 v136, v62, v248                              // 000000009298: 0B11F13E
	v_mul_f32_e32 v137, v62, v249                              // 00000000929C: 0B13F33E
	v_mul_f32_e32 v138, v62, v250                              // 0000000092A0: 0B15F53E
	v_mul_f32_e32 v139, v62, v251                              // 0000000092A4: 0B17F73E
	v_mul_f32_e32 v140, v62, v252                              // 0000000092A8: 0B19F93E
	v_mul_f32_e32 v141, v62, v253                              // 0000000092AC: 0B1BFB3E
	v_mul_f32_e32 v142, v62, v254                              // 0000000092B0: 0B1DFD3E
	v_mul_f32_e32 v143, v62, v255                              // 0000000092B4: 0B1FFF3E
	v_cvt_i32_f32_e32 v128, v128                               // 0000000092B8: 7F001180
	v_cvt_i32_f32_e32 v129, v129                               // 0000000092BC: 7F021181
	v_cvt_i32_f32_e32 v130, v130                               // 0000000092C0: 7F041182
	v_cvt_i32_f32_e32 v131, v131                               // 0000000092C4: 7F061183
	v_cvt_i32_f32_e32 v132, v132                               // 0000000092C8: 7F081184
	v_cvt_i32_f32_e32 v133, v133                               // 0000000092CC: 7F0A1185
	v_cvt_i32_f32_e32 v134, v134                               // 0000000092D0: 7F0C1186
	v_cvt_i32_f32_e32 v135, v135                               // 0000000092D4: 7F0E1187
	v_cvt_i32_f32_e32 v136, v136                               // 0000000092D8: 7F101188
	v_cvt_i32_f32_e32 v137, v137                               // 0000000092DC: 7F121189
	v_cvt_i32_f32_e32 v138, v138                               // 0000000092E0: 7F14118A
	v_cvt_i32_f32_e32 v139, v139                               // 0000000092E4: 7F16118B
	v_cvt_i32_f32_e32 v140, v140                               // 0000000092E8: 7F18118C
	v_cvt_i32_f32_e32 v141, v141                               // 0000000092EC: 7F1A118D
	v_cvt_i32_f32_e32 v142, v142                               // 0000000092F0: 7F1C118E
	v_cvt_i32_f32_e32 v143, v143                               // 0000000092F4: 7F1E118F
	v_perm_b32 v128, v129, v128, s53                           // 0000000092F8: D1ED0080 00D70181
	v_perm_b32 v128, v130, v128, s54                           // 000000009300: D1ED0080 00DB0182
	v_perm_b32 v128, v131, v128, s55                           // 000000009308: D1ED0080 00DF0183
	v_perm_b32 v129, v133, v132, s53                           // 000000009310: D1ED0081 00D70985
	v_perm_b32 v129, v134, v129, s54                           // 000000009318: D1ED0081 00DB0386
	v_perm_b32 v129, v135, v129, s55                           // 000000009320: D1ED0081 00DF0387
	v_perm_b32 v130, v137, v136, s53                           // 000000009328: D1ED0082 00D71189
	v_perm_b32 v130, v138, v130, s54                           // 000000009330: D1ED0082 00DB058A
	v_perm_b32 v130, v139, v130, s55                           // 000000009338: D1ED0082 00DF058B
	v_perm_b32 v131, v141, v140, s53                           // 000000009340: D1ED0083 00D7198D
	v_perm_b32 v131, v142, v131, s54                           // 000000009348: D1ED0083 00DB078E
	v_perm_b32 v131, v143, v131, s55                           // 000000009350: D1ED0083 00DF078F
	ds_write_b32 v13, v128 offset:25088                        // 000000009358: D81A6200 0000800D
	ds_write_b32 v13, v129 offset:26112                        // 000000009360: D81A6600 0000810D
	ds_write_b32 v13, v130 offset:27136                        // 000000009368: D81A6A00 0000820D
	ds_write_b32 v13, v131 offset:28160                        // 000000009370: D81A6E00 0000830D
	v_add_f32_e32 v224, v224, v192                             // 000000009378: 03C181E0
	v_add_f32_e32 v225, v225, v193                             // 00000000937C: 03C383E1
	v_add_f32_e32 v226, v226, v194                             // 000000009380: 03C585E2
	v_add_f32_e32 v227, v227, v195                             // 000000009384: 03C787E3
	v_add_f32_e32 v228, v228, v196                             // 000000009388: 03C989E4
	v_add_f32_e32 v229, v229, v197                             // 00000000938C: 03CB8BE5
	v_add_f32_e32 v230, v230, v198                             // 000000009390: 03CD8DE6
	v_add_f32_e32 v231, v231, v199                             // 000000009394: 03CF8FE7
	v_rcp_f32_e32 v58, v62                                     // 000000009398: 7E74453E
	s_waitcnt lgkmcnt(0)                                       // 00000000939C: BF8CC07F
	s_barrier                                                  // 0000000093A0: BF8A0000
	ds_read_b64 v[128:129], v12 offset:25088                   // 0000000093A4: D8EC6200 8000000C
	ds_read_b64 v[130:131], v12 offset:25216                   // 0000000093AC: D8EC6280 8200000C
	ds_read_b64 v[132:133], v12 offset:26112                   // 0000000093B4: D8EC6600 8400000C
	ds_read_b64 v[134:135], v12 offset:26240                   // 0000000093BC: D8EC6680 8600000C
	ds_read_b64 v[136:137], v12 offset:27136                   // 0000000093C4: D8EC6A00 8800000C
	ds_read_b64 v[138:139], v12 offset:27264                   // 0000000093CC: D8EC6A80 8A00000C
	ds_read_b64 v[140:141], v12 offset:28160                   // 0000000093D4: D8EC6E00 8C00000C
	ds_read_b64 v[142:143], v12 offset:28288                   // 0000000093DC: D8EC6E80 8E00000C
	s_waitcnt vmcnt(0)                                         // 0000000093E4: BF8C0F70
	s_barrier                                                  // 0000000093E8: BF8A0000
	s_waitcnt lgkmcnt(7)                                       // 0000000093EC: BF8CC77F
	v_mfma_i32_16x16x32_i8 v[192:195], a[64:65], v[128:129], 0 // 0000000093F0: D3D700C0 0A030140
	s_waitcnt lgkmcnt(6)                                       // 0000000093F8: BF8CC67F
	v_mfma_i32_16x16x32_i8 v[192:195], a[66:67], v[130:131], v[192:195]// 0000000093FC: D3D700C0 0F030542
	s_waitcnt lgkmcnt(5)                                       // 000000009404: BF8CC57F
	v_mfma_i32_16x16x32_i8 v[192:195], a[68:69], v[132:133], v[192:195]// 000000009408: D3D700C0 0F030944
	s_waitcnt lgkmcnt(4)                                       // 000000009410: BF8CC47F
	v_mfma_i32_16x16x32_i8 v[192:195], a[70:71], v[134:135], v[192:195]// 000000009414: D3D700C0 0F030D46
	s_waitcnt lgkmcnt(3)                                       // 00000000941C: BF8CC37F
	v_mfma_i32_16x16x32_i8 v[192:195], a[72:73], v[136:137], v[192:195]// 000000009420: D3D700C0 0F031148
	s_waitcnt lgkmcnt(2)                                       // 000000009428: BF8CC27F
	v_mfma_i32_16x16x32_i8 v[192:195], a[74:75], v[138:139], v[192:195]// 00000000942C: D3D700C0 0F03154A
	s_waitcnt lgkmcnt(1)                                       // 000000009434: BF8CC17F
	v_mfma_i32_16x16x32_i8 v[192:195], a[76:77], v[140:141], v[192:195]// 000000009438: D3D700C0 0F03194C
	s_waitcnt lgkmcnt(0)                                       // 000000009440: BF8CC07F
	v_mfma_i32_16x16x32_i8 v[192:195], a[78:79], v[142:143], v[192:195]// 000000009444: D3D700C0 0F031D4E
	v_mfma_i32_16x16x32_i8 v[196:199], a[80:81], v[128:129], 0 // 00000000944C: D3D700C4 0A030150
	v_mfma_i32_16x16x32_i8 v[196:199], a[82:83], v[130:131], v[196:199]// 000000009454: D3D700C4 0F130552
	v_mfma_i32_16x16x32_i8 v[196:199], a[84:85], v[132:133], v[196:199]// 00000000945C: D3D700C4 0F130954
	v_mfma_i32_16x16x32_i8 v[196:199], a[86:87], v[134:135], v[196:199]// 000000009464: D3D700C4 0F130D56
	v_mfma_i32_16x16x32_i8 v[196:199], a[88:89], v[136:137], v[196:199]// 00000000946C: D3D700C4 0F131158
	v_mfma_i32_16x16x32_i8 v[196:199], a[90:91], v[138:139], v[196:199]// 000000009474: D3D700C4 0F13155A
	v_mfma_i32_16x16x32_i8 v[196:199], a[92:93], v[140:141], v[196:199]// 00000000947C: D3D700C4 0F13195C
	v_mfma_i32_16x16x32_i8 v[196:199], a[94:95], v[142:143], v[196:199]// 000000009484: D3D700C4 0F131D5E
	s_nop 4                                                    // 00000000948C: BF800004
	s_branch label_1F53                                        // 000000009490: BF8202AE

0000000000009494 <label_1CA5>:
	s_waitcnt vmcnt(8) lgkmcnt(0)                              // 000000009494: BF8C0078
	s_barrier                                                  // 000000009498: BF8A0000
	v_mfma_i32_16x16x32_i8 v[128:131], a[32:33], v[96:97], 0   // 00000000949C: D3D70080 0A02C120
	v_mfma_i32_16x16x32_i8 v[128:131], a[34:35], v[98:99], v[128:131]// 0000000094A4: D3D70080 0E02C522
	v_mfma_i32_16x16x32_i8 v[128:131], a[36:37], v[100:101], v[128:131]// 0000000094AC: D3D70080 0E02C924
	v_mfma_i32_16x16x32_i8 v[128:131], a[38:39], v[102:103], v[128:131]// 0000000094B4: D3D70080 0E02CD26
	v_mfma_i32_16x16x32_i8 v[132:135], a[40:41], v[96:97], 0   // 0000000094BC: D3D70084 0A02C128
	v_mfma_i32_16x16x32_i8 v[132:135], a[42:43], v[98:99], v[132:135]// 0000000094C4: D3D70084 0E12C52A
	v_mfma_i32_16x16x32_i8 v[132:135], a[44:45], v[100:101], v[132:135]// 0000000094CC: D3D70084 0E12C92C
	v_mfma_i32_16x16x32_i8 v[132:135], a[46:47], v[102:103], v[132:135]// 0000000094D4: D3D70084 0E12CD2E
	v_mfma_i32_16x16x32_i8 v[136:139], a[48:49], v[96:97], 0   // 0000000094DC: D3D70088 0A02C130
	v_mfma_i32_16x16x32_i8 v[136:139], a[50:51], v[98:99], v[136:139]// 0000000094E4: D3D70088 0E22C532
	v_mfma_i32_16x16x32_i8 v[136:139], a[52:53], v[100:101], v[136:139]// 0000000094EC: D3D70088 0E22C934
	v_mfma_i32_16x16x32_i8 v[136:139], a[54:55], v[102:103], v[136:139]// 0000000094F4: D3D70088 0E22CD36
	v_mfma_i32_16x16x32_i8 v[140:143], a[56:57], v[96:97], 0   // 0000000094FC: D3D7008C 0A02C138
	v_mfma_i32_16x16x32_i8 v[140:143], a[58:59], v[98:99], v[140:143]// 000000009504: D3D7008C 0E32C53A
	v_mfma_i32_16x16x32_i8 v[140:143], a[60:61], v[100:101], v[140:143]// 00000000950C: D3D7008C 0E32C93C
	v_mfma_i32_16x16x32_i8 v[140:143], a[62:63], v[102:103], v[140:143]// 000000009514: D3D7008C 0E32CD3E
	v_mov_b32_dpp v41, v53 row_shr:4 row_mask:0xf bank_mask:0xf// 00000000951C: 7E5202FA FF011435
	v_mov_b32_dpp v42, v53 row_shl:4 row_mask:0xf bank_mask:0xf// 000000009524: 7E5402FA FF010435
	v_cndmask_b32_e64 v248, v53, v41, s[44:45]                 // 00000000952C: D10000F8 00B25335
	v_cndmask_b32_e64 v249, v42, v53, s[44:45]                 // 000000009534: D10000F9 00B26B2A
	v_mov_b32_dpp v41, v248 row_shr:8 row_mask:0xf bank_mask:0xf// 00000000953C: 7E5202FA FF0118F8
	v_mov_b32_dpp v42, v248 row_shl:8 row_mask:0xf bank_mask:0xf// 000000009544: 7E5402FA FF0108F8
	v_mov_b32_dpp v43, v249 row_shr:8 row_mask:0xf bank_mask:0xf// 00000000954C: 7E5602FA FF0118F9
	v_mov_b32_dpp v44, v249 row_shl:8 row_mask:0xf bank_mask:0xf// 000000009554: 7E5802FA FF0108F9
	v_mov_b32_e32 v45, v248                                    // 00000000955C: 7E5A03F8
	v_mov_b32_e32 v46, v249                                    // 000000009560: 7E5C03F9
	v_cndmask_b32_e64 v248, v45, v41, s[42:43]                 // 000000009564: D10000F8 00AA532D
	v_cndmask_b32_e64 v250, v45, v42, s[78:79]                 // 00000000956C: D10000FA 013A552D
	v_cndmask_b32_e64 v249, v46, v43, s[42:43]                 // 000000009574: D10000F9 00AA572E
	v_cndmask_b32_e64 v251, v46, v44, s[78:79]                 // 00000000957C: D10000FB 013A592E
	v_mov_b32_dpp v41, v73 row_shr:4 row_mask:0xf bank_mask:0xf// 000000009584: 7E5202FA FF011449
	v_mov_b32_dpp v42, v73 row_shl:4 row_mask:0xf bank_mask:0xf// 00000000958C: 7E5402FA FF010449
	v_cndmask_b32_e64 v252, v73, v41, s[44:45]                 // 000000009594: D10000FC 00B25349
	v_cndmask_b32_e64 v253, v42, v73, s[44:45]                 // 00000000959C: D10000FD 00B2932A
	v_mov_b32_dpp v41, v252 row_shr:8 row_mask:0xf bank_mask:0xf// 0000000095A4: 7E5202FA FF0118FC
	v_mov_b32_dpp v42, v252 row_shl:8 row_mask:0xf bank_mask:0xf// 0000000095AC: 7E5402FA FF0108FC
	v_mov_b32_dpp v43, v253 row_shr:8 row_mask:0xf bank_mask:0xf// 0000000095B4: 7E5602FA FF0118FD
	v_mov_b32_dpp v44, v253 row_shl:8 row_mask:0xf bank_mask:0xf// 0000000095BC: 7E5802FA FF0108FD
	v_mov_b32_e32 v45, v252                                    // 0000000095C4: 7E5A03FC
	v_mov_b32_e32 v46, v253                                    // 0000000095C8: 7E5C03FD
	v_cndmask_b32_e64 v252, v45, v41, s[42:43]                 // 0000000095CC: D10000FC 00AA532D
	v_cndmask_b32_e64 v254, v45, v42, s[78:79]                 // 0000000095D4: D10000FE 013A552D
	v_cndmask_b32_e64 v253, v46, v43, s[42:43]                 // 0000000095DC: D10000FD 00AA572E
	v_cndmask_b32_e64 v255, v46, v44, s[78:79]                 // 0000000095E4: D10000FF 013A592E
	v_cvt_f32_i32_e32 v128, v128                               // 0000000095EC: 7F000B80
	v_cvt_f32_i32_e32 v129, v129                               // 0000000095F0: 7F020B81
	v_cvt_f32_i32_e32 v130, v130                               // 0000000095F4: 7F040B82
	v_cvt_f32_i32_e32 v131, v131                               // 0000000095F8: 7F060B83
	v_cvt_f32_i32_e32 v132, v132                               // 0000000095FC: 7F080B84
	v_cvt_f32_i32_e32 v133, v133                               // 000000009600: 7F0A0B85
	v_cvt_f32_i32_e32 v134, v134                               // 000000009604: 7F0C0B86
	v_cvt_f32_i32_e32 v135, v135                               // 000000009608: 7F0E0B87
	v_cvt_f32_i32_e32 v136, v136                               // 00000000960C: 7F100B88
	v_cvt_f32_i32_e32 v137, v137                               // 000000009610: 7F120B89
	v_cvt_f32_i32_e32 v138, v138                               // 000000009614: 7F140B8A
	v_cvt_f32_i32_e32 v139, v139                               // 000000009618: 7F160B8B
	v_cvt_f32_i32_e32 v140, v140                               // 00000000961C: 7F180B8C
	v_cvt_f32_i32_e32 v141, v141                               // 000000009620: 7F1A0B8D
	v_cvt_f32_i32_e32 v142, v142                               // 000000009624: 7F1C0B8E
	v_cvt_f32_i32_e32 v143, v143                               // 000000009628: 7F1E0B8F
	v_mul_f32_e32 v128, v54, v128                              // 00000000962C: 0B010136
	v_mul_f32_e32 v129, v54, v129                              // 000000009630: 0B030336
	v_mul_f32_e32 v130, v54, v130                              // 000000009634: 0B050536
	v_mul_f32_e32 v131, v54, v131                              // 000000009638: 0B070736
	v_mul_f32_e32 v132, v54, v132                              // 00000000963C: 0B090936
	v_mul_f32_e32 v133, v54, v133                              // 000000009640: 0B0B0B36
	v_mul_f32_e32 v134, v54, v134                              // 000000009644: 0B0D0D36
	v_mul_f32_e32 v135, v54, v135                              // 000000009648: 0B0F0F36
	v_mul_f32_e32 v136, v54, v136                              // 00000000964C: 0B111136
	v_mul_f32_e32 v137, v54, v137                              // 000000009650: 0B131336
	v_mul_f32_e32 v138, v54, v138                              // 000000009654: 0B151536
	v_mul_f32_e32 v139, v54, v139                              // 000000009658: 0B171736
	v_mul_f32_e32 v140, v54, v140                              // 00000000965C: 0B191936
	v_mul_f32_e32 v141, v54, v141                              // 000000009660: 0B1B1B36
	v_mul_f32_e32 v142, v54, v142                              // 000000009664: 0B1D1D36
	v_mul_f32_e32 v143, v54, v143                              // 000000009668: 0B1F1F36
	v_mul_f32_dpp v128, v248, v128 quad_perm:[0,0,0,0] row_mask:0xf bank_mask:0xf// 00000000966C: 0B0100FA FF0000F8
	v_mul_f32_dpp v129, v248, v129 quad_perm:[1,1,1,1] row_mask:0xf bank_mask:0xf// 000000009674: 0B0302FA FF0055F8
	v_mul_f32_dpp v130, v248, v130 quad_perm:[2,2,2,2] row_mask:0xf bank_mask:0xf// 00000000967C: 0B0504FA FF00AAF8
	v_mul_f32_dpp v131, v248, v131 quad_perm:[3,3,3,3] row_mask:0xf bank_mask:0xf// 000000009684: 0B0706FA FF00FFF8
	v_mul_f32_dpp v132, v249, v132 quad_perm:[0,0,0,0] row_mask:0xf bank_mask:0xf// 00000000968C: 0B0908FA FF0000F9
	v_mul_f32_dpp v133, v249, v133 quad_perm:[1,1,1,1] row_mask:0xf bank_mask:0xf// 000000009694: 0B0B0AFA FF0055F9
	v_mul_f32_dpp v134, v249, v134 quad_perm:[2,2,2,2] row_mask:0xf bank_mask:0xf// 00000000969C: 0B0D0CFA FF00AAF9
	v_mul_f32_dpp v135, v249, v135 quad_perm:[3,3,3,3] row_mask:0xf bank_mask:0xf// 0000000096A4: 0B0F0EFA FF00FFF9
	v_mul_f32_dpp v136, v250, v136 quad_perm:[0,0,0,0] row_mask:0xf bank_mask:0xf// 0000000096AC: 0B1110FA FF0000FA
	v_mul_f32_dpp v137, v250, v137 quad_perm:[1,1,1,1] row_mask:0xf bank_mask:0xf// 0000000096B4: 0B1312FA FF0055FA
	v_mul_f32_dpp v138, v250, v138 quad_perm:[2,2,2,2] row_mask:0xf bank_mask:0xf// 0000000096BC: 0B1514FA FF00AAFA
	v_mul_f32_dpp v139, v250, v139 quad_perm:[3,3,3,3] row_mask:0xf bank_mask:0xf// 0000000096C4: 0B1716FA FF00FFFA
	v_mul_f32_dpp v140, v251, v140 quad_perm:[0,0,0,0] row_mask:0xf bank_mask:0xf// 0000000096CC: 0B1918FA FF0000FB
	v_mul_f32_dpp v141, v251, v141 quad_perm:[1,1,1,1] row_mask:0xf bank_mask:0xf// 0000000096D4: 0B1B1AFA FF0055FB
	v_mul_f32_dpp v142, v251, v142 quad_perm:[2,2,2,2] row_mask:0xf bank_mask:0xf// 0000000096DC: 0B1D1CFA FF00AAFB
	v_mul_f32_dpp v143, v251, v143 quad_perm:[3,3,3,3] row_mask:0xf bank_mask:0xf// 0000000096E4: 0B1F1EFA FF00FFFB
	s_and_b32 s60, s72, 0xff                                   // 0000000096EC: 863CFF48 000000FF
	v_mov_b32_e32 v42, s60                                     // 0000000096F4: 7E54023C
	v_lshrrev_b32_e32 v240, 4, v0                              // 0000000096F8: 21E00084
	v_mul_i32_i24_e32 v240, 4, v240                            // 0000000096FC: 0DE1E084
	s_mul_i32 s60, s7, 16                                      // 000000009700: 923C9007
	v_add_u32_e32 v240, s60, v240                              // 000000009704: 69E1E03C
	v_add_u32_e32 v241, 1, v240                                // 000000009708: 69E3E081
	v_add_u32_e32 v242, 2, v240                                // 00000000970C: 69E5E082
	v_add_u32_e32 v243, 3, v240                                // 000000009710: 69E7E083
	v_mov_b32_e32 v41, 0xff800000                              // 000000009714: 7E5202FF FF800000
	v_cmp_lt_u32_e64 s[40:41], v240, v42                       // 00000000971C: D0C90028 000255F0
	v_add_u32_e32 v240, 64, v240                               // 000000009724: 69E1E0C0
	s_nop 0                                                    // 000000009728: BF800000
	v_cndmask_b32_e64 v128, v41, v128, s[40:41]                // 00000000972C: D1000080 00A30129
	v_cmp_lt_u32_e64 s[40:41], v241, v42                       // 000000009734: D0C90028 000255F1
	v_add_u32_e32 v241, 64, v241                               // 00000000973C: 69E3E2C0
	s_nop 0                                                    // 000000009740: BF800000
	v_cndmask_b32_e64 v129, v41, v129, s[40:41]                // 000000009744: D1000081 00A30329
	v_cmp_lt_u32_e64 s[40:41], v242, v42                       // 00000000974C: D0C90028 000255F2
	v_add_u32_e32 v242, 64, v242                               // 000000009754: 69E5E4C0
	s_nop 0                                                    // 000000009758: BF800000
	v_cndmask_b32_e64 v130, v41, v130, s[40:41]                // 00000000975C: D1000082 00A30529
	v_cmp_lt_u32_e64 s[40:41], v243, v42                       // 000000009764: D0C90028 000255F3
	v_add_u32_e32 v243, 64, v243                               // 00000000976C: 69E7E6C0
	s_nop 0                                                    // 000000009770: BF800000
	v_cndmask_b32_e64 v131, v41, v131, s[40:41]                // 000000009774: D1000083 00A30729
	v_cmp_lt_u32_e64 s[40:41], v240, v42                       // 00000000977C: D0C90028 000255F0
	v_add_u32_e32 v240, 64, v240                               // 000000009784: 69E1E0C0
	s_nop 0                                                    // 000000009788: BF800000
	v_cndmask_b32_e64 v132, v41, v132, s[40:41]                // 00000000978C: D1000084 00A30929
	v_cmp_lt_u32_e64 s[40:41], v241, v42                       // 000000009794: D0C90028 000255F1
	v_add_u32_e32 v241, 64, v241                               // 00000000979C: 69E3E2C0
	s_nop 0                                                    // 0000000097A0: BF800000
	v_cndmask_b32_e64 v133, v41, v133, s[40:41]                // 0000000097A4: D1000085 00A30B29
	v_cmp_lt_u32_e64 s[40:41], v242, v42                       // 0000000097AC: D0C90028 000255F2
	v_add_u32_e32 v242, 64, v242                               // 0000000097B4: 69E5E4C0
	s_nop 0                                                    // 0000000097B8: BF800000
	v_cndmask_b32_e64 v134, v41, v134, s[40:41]                // 0000000097BC: D1000086 00A30D29
	v_cmp_lt_u32_e64 s[40:41], v243, v42                       // 0000000097C4: D0C90028 000255F3
	v_add_u32_e32 v243, 64, v243                               // 0000000097CC: 69E7E6C0
	s_nop 0                                                    // 0000000097D0: BF800000
	v_cndmask_b32_e64 v135, v41, v135, s[40:41]                // 0000000097D4: D1000087 00A30F29
	v_cmp_lt_u32_e64 s[40:41], v240, v42                       // 0000000097DC: D0C90028 000255F0
	v_add_u32_e32 v240, 64, v240                               // 0000000097E4: 69E1E0C0
	s_nop 0                                                    // 0000000097E8: BF800000
	v_cndmask_b32_e64 v136, v41, v136, s[40:41]                // 0000000097EC: D1000088 00A31129
	v_cmp_lt_u32_e64 s[40:41], v241, v42                       // 0000000097F4: D0C90028 000255F1
	v_add_u32_e32 v241, 64, v241                               // 0000000097FC: 69E3E2C0
	s_nop 0                                                    // 000000009800: BF800000
	v_cndmask_b32_e64 v137, v41, v137, s[40:41]                // 000000009804: D1000089 00A31329
	v_cmp_lt_u32_e64 s[40:41], v242, v42                       // 00000000980C: D0C90028 000255F2
	v_add_u32_e32 v242, 64, v242                               // 000000009814: 69E5E4C0
	s_nop 0                                                    // 000000009818: BF800000
	v_cndmask_b32_e64 v138, v41, v138, s[40:41]                // 00000000981C: D100008A 00A31529
	v_cmp_lt_u32_e64 s[40:41], v243, v42                       // 000000009824: D0C90028 000255F3
	v_add_u32_e32 v243, 64, v243                               // 00000000982C: 69E7E6C0
	s_nop 0                                                    // 000000009830: BF800000
	v_cndmask_b32_e64 v139, v41, v139, s[40:41]                // 000000009834: D100008B 00A31729
	v_cmp_lt_u32_e64 s[40:41], v240, v42                       // 00000000983C: D0C90028 000255F0
	v_add_u32_e32 v240, 64, v240                               // 000000009844: 69E1E0C0
	s_nop 0                                                    // 000000009848: BF800000
	v_cndmask_b32_e64 v140, v41, v140, s[40:41]                // 00000000984C: D100008C 00A31929
	v_cmp_lt_u32_e64 s[40:41], v241, v42                       // 000000009854: D0C90028 000255F1
	v_add_u32_e32 v241, 64, v241                               // 00000000985C: 69E3E2C0
	s_nop 0                                                    // 000000009860: BF800000
	v_cndmask_b32_e64 v141, v41, v141, s[40:41]                // 000000009864: D100008D 00A31B29
	v_cmp_lt_u32_e64 s[40:41], v242, v42                       // 00000000986C: D0C90028 000255F2
	v_add_u32_e32 v242, 64, v242                               // 000000009874: 69E5E4C0
	s_nop 0                                                    // 000000009878: BF800000
	v_cndmask_b32_e64 v142, v41, v142, s[40:41]                // 00000000987C: D100008E 00A31D29
	v_cmp_lt_u32_e64 s[40:41], v243, v42                       // 000000009884: D0C90028 000255F3
	v_add_u32_e32 v243, 64, v243                               // 00000000988C: 69E7E6C0
	s_nop 0                                                    // 000000009890: BF800000
	v_cndmask_b32_e64 v143, v41, v143, s[40:41]                // 000000009894: D100008F 00A31F29
	v_mov_b32_e32 v62, v128                                    // 00000000989C: 7E7C0380
	v_max3_f32 v62, v128, v129, v62                            // 0000000098A0: D1D3003E 04FB0380
	v_max3_f32 v62, v130, v131, v62                            // 0000000098A8: D1D3003E 04FB0782
	v_max3_f32 v62, v132, v133, v62                            // 0000000098B0: D1D3003E 04FB0B84
	v_max3_f32 v62, v134, v135, v62                            // 0000000098B8: D1D3003E 04FB0F86
	v_max3_f32 v62, v136, v137, v62                            // 0000000098C0: D1D3003E 04FB1388
	v_max3_f32 v62, v138, v139, v62                            // 0000000098C8: D1D3003E 04FB178A
	v_max3_f32 v62, v140, v141, v62                            // 0000000098D0: D1D3003E 04FB1B8C
	v_max3_f32 v62, v142, v143, v62                            // 0000000098D8: D1D3003E 04FB1F8E
	ds_write_b32 v11, v62 offset:16896                         // 0000000098E0: D81A4200 00003E0B
	v_mul_u32_u24_dpp v41, v19, v68 row_newbcast:1 row_mask:0xf bank_mask:0xf// 0000000098E8: 105288FA FF015113
	v_mul_u32_u24_dpp v42, v19, v68 row_newbcast:5 row_mask:0xf bank_mask:0xf// 0000000098F0: 105488FA FF015513
	v_mul_u32_u24_dpp v43, v19, v68 row_newbcast:9 row_mask:0xf bank_mask:0xf// 0000000098F8: 105688FA FF015913
	v_mul_u32_u24_dpp v44, v19, v68 row_newbcast:13 row_mask:0xf bank_mask:0xf// 000000009900: 105888FA FF015D13
	v_add_u32_e32 v33, v41, v7                                 // 000000009908: 68420F29
	v_add_u32_e32 v34, v42, v7                                 // 00000000990C: 68440F2A
	v_add_u32_e32 v35, v43, v7                                 // 000000009910: 68460F2B
	v_add_u32_e32 v36, v44, v7                                 // 000000009914: 68480F2C
	v_mul_f32_e32 v224, v63, v224                              // 000000009918: 0BC1C13F
	v_mul_f32_e32 v225, v63, v225                              // 00000000991C: 0BC3C33F
	v_mul_f32_e32 v226, v63, v226                              // 000000009920: 0BC5C53F
	v_mul_f32_e32 v227, v63, v227                              // 000000009924: 0BC7C73F
	v_mul_f32_e32 v228, v63, v228                              // 000000009928: 0BC9C93F
	v_mul_f32_e32 v229, v63, v229                              // 00000000992C: 0BCBCB3F
	v_mul_f32_e32 v230, v63, v230                              // 000000009930: 0BCDCD3F
	v_mul_f32_e32 v231, v63, v231                              // 000000009934: 0BCFCF3F
	s_waitcnt lgkmcnt(0)                                       // 000000009938: BF8CC07F
	s_barrier                                                  // 00000000993C: BF8A0000
	ds_read_b32 v80, v10 offset:16896                          // 000000009940: D86C4200 5000000A
	ds_read_b32 v81, v10 offset:16960                          // 000000009948: D86C4240 5100000A
	ds_read_b32 v82, v10 offset:17024                          // 000000009950: D86C4280 5200000A
	ds_read_b32 v83, v10 offset:17088                          // 000000009958: D86C42C0 5300000A
	ds_read_b32 v84, v10 offset:17152                          // 000000009960: D86C4300 5400000A
	ds_read_b32 v85, v10 offset:17216                          // 000000009968: D86C4340 5500000A
	ds_read_b32 v86, v10 offset:17280                          // 000000009970: D86C4380 5600000A
	ds_read_b32 v87, v10 offset:17344                          // 000000009978: D86C43C0 5700000A
	ds_read_b32 v88, v10 offset:17408                          // 000000009980: D86C4400 5800000A
	ds_read_b32 v89, v10 offset:17472                          // 000000009988: D86C4440 5900000A
	ds_read_b32 v90, v10 offset:17536                          // 000000009990: D86C4480 5A00000A
	ds_read_b32 v91, v10 offset:17600                          // 000000009998: D86C44C0 5B00000A
	ds_read_b32 v92, v10 offset:17664                          // 0000000099A0: D86C4500 5C00000A
	ds_read_b32 v93, v10 offset:17728                          // 0000000099A8: D86C4540 5D00000A
	ds_read_b32 v94, v10 offset:17792                          // 0000000099B0: D86C4580 5E00000A
	ds_read_b32 v95, v10 offset:17856                          // 0000000099B8: D86C45C0 5F00000A
	v_cvt_f32_i32_e32 v192, v192                               // 0000000099C0: 7F800BC0
	v_cvt_f32_i32_e32 v193, v193                               // 0000000099C4: 7F820BC1
	v_cvt_f32_i32_e32 v194, v194                               // 0000000099C8: 7F840BC2
	v_cvt_f32_i32_e32 v195, v195                               // 0000000099CC: 7F860BC3
	v_cvt_f32_i32_e32 v196, v196                               // 0000000099D0: 7F880BC4
	v_cvt_f32_i32_e32 v197, v197                               // 0000000099D4: 7F8A0BC5
	v_cvt_f32_i32_e32 v198, v198                               // 0000000099D8: 7F8C0BC6
	v_cvt_f32_i32_e32 v199, v199                               // 0000000099DC: 7F8E0BC7
	v_mul_f32_e32 v192, v58, v192                              // 0000000099E0: 0B81813A
	v_mul_f32_e32 v193, v58, v193                              // 0000000099E4: 0B83833A
	v_mul_f32_e32 v194, v58, v194                              // 0000000099E8: 0B85853A
	v_mul_f32_e32 v195, v58, v195                              // 0000000099EC: 0B87873A
	v_mul_f32_e32 v196, v58, v196                              // 0000000099F0: 0B89893A
	v_mul_f32_e32 v197, v58, v197                              // 0000000099F4: 0B8B8B3A
	v_mul_f32_e32 v198, v58, v198                              // 0000000099F8: 0B8D8D3A
	v_mul_f32_e32 v199, v58, v199                              // 0000000099FC: 0B8F8F3A
	s_waitcnt lgkmcnt(0)                                       // 000000009A00: BF8CC07F
	v_max3_f32 v62, v80, v81, v62                              // 000000009A04: D1D3003E 04FAA350
	v_max3_f32 v62, v82, v83, v62                              // 000000009A0C: D1D3003E 04FAA752
	v_max3_f32 v62, v84, v85, v62                              // 000000009A14: D1D3003E 04FAAB54
	v_max3_f32 v62, v86, v87, v62                              // 000000009A1C: D1D3003E 04FAAF56
	v_max3_f32 v62, v88, v89, v62                              // 000000009A24: D1D3003E 04FAB358
	v_max3_f32 v62, v90, v91, v62                              // 000000009A2C: D1D3003E 04FAB75A
	v_max3_f32 v62, v92, v93, v62                              // 000000009A34: D1D3003E 04FABB5C
	v_max3_f32 v62, v94, v95, v62                              // 000000009A3C: D1D3003E 04FABF5E
	v_mov_b32_e32 v41, 0xff800000                              // 000000009A44: 7E5202FF FF800000
	v_cmp_eq_u32_e64 s[40:41], v41, v14                        // 000000009A4C: D0CA0028 00021D29
	s_nop 1                                                    // 000000009A54: BF800001
	v_max_f32_e32 v18, v62, v14                                // 000000009A58: 16241D3E
	v_mul_f32_e32 v67, s64, v18                                // 000000009A5C: 0A862440
	v_fma_f32 v128, v128, s64, -v67                            // 000000009A60: D1CB0080 850C8180
	v_fma_f32 v129, v129, s64, -v67                            // 000000009A68: D1CB0081 850C8181
	v_fma_f32 v130, v130, s64, -v67                            // 000000009A70: D1CB0082 850C8182
	v_fma_f32 v131, v131, s64, -v67                            // 000000009A78: D1CB0083 850C8183
	v_fma_f32 v132, v132, s64, -v67                            // 000000009A80: D1CB0084 850C8184
	v_fma_f32 v133, v133, s64, -v67                            // 000000009A88: D1CB0085 850C8185
	v_fma_f32 v134, v134, s64, -v67                            // 000000009A90: D1CB0086 850C8186
	v_fma_f32 v135, v135, s64, -v67                            // 000000009A98: D1CB0087 850C8187
	v_fma_f32 v136, v136, s64, -v67                            // 000000009AA0: D1CB0088 850C8188
	v_fma_f32 v137, v137, s64, -v67                            // 000000009AA8: D1CB0089 850C8189
	v_fma_f32 v138, v138, s64, -v67                            // 000000009AB0: D1CB008A 850C818A
	v_fma_f32 v139, v139, s64, -v67                            // 000000009AB8: D1CB008B 850C818B
	v_fma_f32 v140, v140, s64, -v67                            // 000000009AC0: D1CB008C 850C818C
	v_fma_f32 v141, v141, s64, -v67                            // 000000009AC8: D1CB008D 850C818D
	v_fma_f32 v142, v142, s64, -v67                            // 000000009AD0: D1CB008E 850C818E
	v_fma_f32 v143, v143, s64, -v67                            // 000000009AD8: D1CB008F 850C818F
	v_exp_f32_e32 v128, v128                                   // 000000009AE0: 7F004180
	v_exp_f32_e32 v129, v129                                   // 000000009AE4: 7F024181
	v_exp_f32_e32 v130, v130                                   // 000000009AE8: 7F044182
	v_exp_f32_e32 v131, v131                                   // 000000009AEC: 7F064183
	v_exp_f32_e32 v132, v132                                   // 000000009AF0: 7F084184
	v_exp_f32_e32 v133, v133                                   // 000000009AF4: 7F0A4185
	v_exp_f32_e32 v134, v134                                   // 000000009AF8: 7F0C4186
	v_exp_f32_e32 v135, v135                                   // 000000009AFC: 7F0E4187
	v_exp_f32_e32 v136, v136                                   // 000000009B00: 7F104188
	v_exp_f32_e32 v137, v137                                   // 000000009B04: 7F124189
	v_exp_f32_e32 v138, v138                                   // 000000009B08: 7F14418A
	v_exp_f32_e32 v139, v139                                   // 000000009B0C: 7F16418B
	v_exp_f32_e32 v140, v140                                   // 000000009B10: 7F18418C
	v_exp_f32_e32 v141, v141                                   // 000000009B14: 7F1A418D
	v_exp_f32_e32 v142, v142                                   // 000000009B18: 7F1C418E
	v_exp_f32_e32 v143, v143                                   // 000000009B1C: 7F1E418F
	v_mul_f32_dpp v240, v252, v128 quad_perm:[0,0,0,0] row_mask:0xf bank_mask:0xf// 000000009B20: 0BE100FA FF0000FC
	v_mul_f32_dpp v241, v252, v129 quad_perm:[1,1,1,1] row_mask:0xf bank_mask:0xf// 000000009B28: 0BE302FA FF0055FC
	v_mul_f32_dpp v242, v252, v130 quad_perm:[2,2,2,2] row_mask:0xf bank_mask:0xf// 000000009B30: 0BE504FA FF00AAFC
	v_mul_f32_dpp v243, v252, v131 quad_perm:[3,3,3,3] row_mask:0xf bank_mask:0xf// 000000009B38: 0BE706FA FF00FFFC
	v_mul_f32_dpp v244, v253, v132 quad_perm:[0,0,0,0] row_mask:0xf bank_mask:0xf// 000000009B40: 0BE908FA FF0000FD
	v_mul_f32_dpp v245, v253, v133 quad_perm:[1,1,1,1] row_mask:0xf bank_mask:0xf// 000000009B48: 0BEB0AFA FF0055FD
	v_mul_f32_dpp v246, v253, v134 quad_perm:[2,2,2,2] row_mask:0xf bank_mask:0xf// 000000009B50: 0BED0CFA FF00AAFD
	v_mul_f32_dpp v247, v253, v135 quad_perm:[3,3,3,3] row_mask:0xf bank_mask:0xf// 000000009B58: 0BEF0EFA FF00FFFD
	v_mul_f32_dpp v248, v254, v136 quad_perm:[0,0,0,0] row_mask:0xf bank_mask:0xf// 000000009B60: 0BF110FA FF0000FE
	v_mul_f32_dpp v249, v254, v137 quad_perm:[1,1,1,1] row_mask:0xf bank_mask:0xf// 000000009B68: 0BF312FA FF0055FE
	v_mul_f32_dpp v250, v254, v138 quad_perm:[2,2,2,2] row_mask:0xf bank_mask:0xf// 000000009B70: 0BF514FA FF00AAFE
	v_mul_f32_dpp v251, v254, v139 quad_perm:[3,3,3,3] row_mask:0xf bank_mask:0xf// 000000009B78: 0BF716FA FF00FFFE
	v_mul_f32_dpp v252, v255, v140 quad_perm:[0,0,0,0] row_mask:0xf bank_mask:0xf// 000000009B80: 0BF918FA FF0000FF
	v_mul_f32_dpp v253, v255, v141 quad_perm:[1,1,1,1] row_mask:0xf bank_mask:0xf// 000000009B88: 0BFB1AFA FF0055FF
	v_mul_f32_dpp v254, v255, v142 quad_perm:[2,2,2,2] row_mask:0xf bank_mask:0xf// 000000009B90: 0BFD1CFA FF00AAFF
	v_mul_f32_dpp v255, v255, v143 quad_perm:[3,3,3,3] row_mask:0xf bank_mask:0xf// 000000009B98: 0BFF1EFA FF00FFFF
	v_mov_b32_e32 v62, 0x358637bd                              // 000000009BA0: 7E7C02FF 358637BD
	v_max3_f32 v62, |v240|, |v241|, v62                        // 000000009BA8: D1D3033E 04FBE3F0
	v_max3_f32 v62, |v242|, |v243|, v62                        // 000000009BB0: D1D3033E 04FBE7F2
	v_max3_f32 v62, |v244|, |v245|, v62                        // 000000009BB8: D1D3033E 04FBEBF4
	v_max3_f32 v62, |v246|, |v247|, v62                        // 000000009BC0: D1D3033E 04FBEFF6
	v_max3_f32 v62, |v248|, |v249|, v62                        // 000000009BC8: D1D3033E 04FBF3F8
	v_max3_f32 v62, |v250|, |v251|, v62                        // 000000009BD0: D1D3033E 04FBF7FA
	v_max3_f32 v62, |v252|, |v253|, v62                        // 000000009BD8: D1D3033E 04FBFBFC
	v_max3_f32 v62, |v254|, |v255|, v62                        // 000000009BE0: D1D3033E 04FBFFFE
	ds_write_b32 v11, v62 offset:20992                         // 000000009BE8: D81A5200 00003E0B
	v_sub_f32_e32 v63, v14, v18                                // 000000009BF0: 047E250E
	v_cndmask_b32_e64 v63, v63, 0, s[40:41]                    // 000000009BF4: D100003F 00A1013F
	v_mov_b32_e32 v14, v18                                     // 000000009BFC: 7E1C0312
	v_mul_f32_e32 v63, s64, v63                                // 000000009C00: 0A7E7E40
	v_exp_f32_e32 v63, v63                                     // 000000009C04: 7E7E413F
	s_waitcnt lgkmcnt(0)                                       // 000000009C08: BF8CC07F
	s_barrier                                                  // 000000009C0C: BF8A0000
	ds_read_b32 v80, v10 offset:20992                          // 000000009C10: D86C5200 5000000A
	ds_read_b32 v81, v10 offset:21056                          // 000000009C18: D86C5240 5100000A
	ds_read_b32 v82, v10 offset:21120                          // 000000009C20: D86C5280 5200000A
	ds_read_b32 v83, v10 offset:21184                          // 000000009C28: D86C52C0 5300000A
	ds_read_b32 v84, v10 offset:21248                          // 000000009C30: D86C5300 5400000A
	ds_read_b32 v85, v10 offset:21312                          // 000000009C38: D86C5340 5500000A
	ds_read_b32 v86, v10 offset:21376                          // 000000009C40: D86C5380 5600000A
	ds_read_b32 v87, v10 offset:21440                          // 000000009C48: D86C53C0 5700000A
	ds_read_b32 v88, v10 offset:21504                          // 000000009C50: D86C5400 5800000A
	ds_read_b32 v89, v10 offset:21568                          // 000000009C58: D86C5440 5900000A
	ds_read_b32 v90, v10 offset:21632                          // 000000009C60: D86C5480 5A00000A
	ds_read_b32 v91, v10 offset:21696                          // 000000009C68: D86C54C0 5B00000A
	ds_read_b32 v92, v10 offset:21760                          // 000000009C70: D86C5500 5C00000A
	ds_read_b32 v93, v10 offset:21824                          // 000000009C78: D86C5540 5D00000A
	ds_read_b32 v94, v10 offset:21888                          // 000000009C80: D86C5580 5E00000A
	ds_read_b32 v95, v10 offset:21952                          // 000000009C88: D86C55C0 5F00000A
	v_mul_f32_e32 v47, v63, v47                                // 000000009C90: 0A5E5F3F
	v_mov_b32_e32 v18, v128                                    // 000000009C94: 7E240380
	v_add_f32_e32 v18, v129, v18                               // 000000009C98: 02242581
	v_add_f32_e32 v18, v130, v18                               // 000000009C9C: 02242582
	v_add_f32_e32 v18, v131, v18                               // 000000009CA0: 02242583
	v_add_f32_e32 v18, v132, v18                               // 000000009CA4: 02242584
	v_add_f32_e32 v18, v133, v18                               // 000000009CA8: 02242585
	v_add_f32_e32 v18, v134, v18                               // 000000009CAC: 02242586
	v_add_f32_e32 v18, v135, v18                               // 000000009CB0: 02242587
	v_add_f32_e32 v18, v136, v18                               // 000000009CB4: 02242588
	v_add_f32_e32 v18, v137, v18                               // 000000009CB8: 02242589
	v_add_f32_e32 v18, v138, v18                               // 000000009CBC: 0224258A
	v_add_f32_e32 v18, v139, v18                               // 000000009CC0: 0224258B
	v_add_f32_e32 v18, v140, v18                               // 000000009CC4: 0224258C
	v_add_f32_e32 v18, v141, v18                               // 000000009CC8: 0224258D
	v_add_f32_e32 v18, v142, v18                               // 000000009CCC: 0224258E
	v_add_f32_e32 v18, v143, v18                               // 000000009CD0: 0224258F
	v_add_f32_e32 v47, v18, v47                                // 000000009CD4: 025E5F12
	s_waitcnt lgkmcnt(0)                                       // 000000009CD8: BF8CC07F
	v_max3_f32 v62, |v80|, |v81|, v62                          // 000000009CDC: D1D3033E 04FAA350
	v_max3_f32 v62, |v82|, |v83|, v62                          // 000000009CE4: D1D3033E 04FAA752
	v_max3_f32 v62, |v84|, |v85|, v62                          // 000000009CEC: D1D3033E 04FAAB54
	v_max3_f32 v62, |v86|, |v87|, v62                          // 000000009CF4: D1D3033E 04FAAF56
	v_max3_f32 v62, |v88|, |v89|, v62                          // 000000009CFC: D1D3033E 04FAB358
	v_max3_f32 v62, |v90|, |v91|, v62                          // 000000009D04: D1D3033E 04FAB75A
	v_max3_f32 v62, |v92|, |v93|, v62                          // 000000009D0C: D1D3033E 04FABB5C
	v_max3_f32 v62, |v94|, |v95|, v62                          // 000000009D14: D1D3033E 04FABF5E
	s_nop 2                                                    // 000000009D1C: BF800002
	v_rcp_f32_e32 v62, v62                                     // 000000009D20: 7E7C453E
	s_nop 1                                                    // 000000009D24: BF800001
	v_mul_f32_e32 v62, 0x42fe0000, v62                         // 000000009D28: 0A7C7CFF 42FE0000
	v_mul_f32_e32 v128, v62, v240                              // 000000009D30: 0B01E13E
	v_mul_f32_e32 v129, v62, v241                              // 000000009D34: 0B03E33E
	v_mul_f32_e32 v130, v62, v242                              // 000000009D38: 0B05E53E
	v_mul_f32_e32 v131, v62, v243                              // 000000009D3C: 0B07E73E
	v_mul_f32_e32 v132, v62, v244                              // 000000009D40: 0B09E93E
	v_mul_f32_e32 v133, v62, v245                              // 000000009D44: 0B0BEB3E
	v_mul_f32_e32 v134, v62, v246                              // 000000009D48: 0B0DED3E
	v_mul_f32_e32 v135, v62, v247                              // 000000009D4C: 0B0FEF3E
	v_mul_f32_e32 v136, v62, v248                              // 000000009D50: 0B11F13E
	v_mul_f32_e32 v137, v62, v249                              // 000000009D54: 0B13F33E
	v_mul_f32_e32 v138, v62, v250                              // 000000009D58: 0B15F53E
	v_mul_f32_e32 v139, v62, v251                              // 000000009D5C: 0B17F73E
	v_mul_f32_e32 v140, v62, v252                              // 000000009D60: 0B19F93E
	v_mul_f32_e32 v141, v62, v253                              // 000000009D64: 0B1BFB3E
	v_mul_f32_e32 v142, v62, v254                              // 000000009D68: 0B1DFD3E
	v_mul_f32_e32 v143, v62, v255                              // 000000009D6C: 0B1FFF3E
	v_cvt_i32_f32_e32 v128, v128                               // 000000009D70: 7F001180
	v_cvt_i32_f32_e32 v129, v129                               // 000000009D74: 7F021181
	v_cvt_i32_f32_e32 v130, v130                               // 000000009D78: 7F041182
	v_cvt_i32_f32_e32 v131, v131                               // 000000009D7C: 7F061183
	v_cvt_i32_f32_e32 v132, v132                               // 000000009D80: 7F081184
	v_cvt_i32_f32_e32 v133, v133                               // 000000009D84: 7F0A1185
	v_cvt_i32_f32_e32 v134, v134                               // 000000009D88: 7F0C1186
	v_cvt_i32_f32_e32 v135, v135                               // 000000009D8C: 7F0E1187
	v_cvt_i32_f32_e32 v136, v136                               // 000000009D90: 7F101188
	v_cvt_i32_f32_e32 v137, v137                               // 000000009D94: 7F121189
	v_cvt_i32_f32_e32 v138, v138                               // 000000009D98: 7F14118A
	v_cvt_i32_f32_e32 v139, v139                               // 000000009D9C: 7F16118B
	v_cvt_i32_f32_e32 v140, v140                               // 000000009DA0: 7F18118C
	v_cvt_i32_f32_e32 v141, v141                               // 000000009DA4: 7F1A118D
	v_cvt_i32_f32_e32 v142, v142                               // 000000009DA8: 7F1C118E
	v_cvt_i32_f32_e32 v143, v143                               // 000000009DAC: 7F1E118F
	v_perm_b32 v128, v129, v128, s53                           // 000000009DB0: D1ED0080 00D70181
	v_perm_b32 v128, v130, v128, s54                           // 000000009DB8: D1ED0080 00DB0182
	v_perm_b32 v128, v131, v128, s55                           // 000000009DC0: D1ED0080 00DF0183
	v_perm_b32 v129, v133, v132, s53                           // 000000009DC8: D1ED0081 00D70985
	v_perm_b32 v129, v134, v129, s54                           // 000000009DD0: D1ED0081 00DB0386
	v_perm_b32 v129, v135, v129, s55                           // 000000009DD8: D1ED0081 00DF0387
	v_perm_b32 v130, v137, v136, s53                           // 000000009DE0: D1ED0082 00D71189
	v_perm_b32 v130, v138, v130, s54                           // 000000009DE8: D1ED0082 00DB058A
	v_perm_b32 v130, v139, v130, s55                           // 000000009DF0: D1ED0082 00DF058B
	v_perm_b32 v131, v141, v140, s53                           // 000000009DF8: D1ED0083 00D7198D
	v_perm_b32 v131, v142, v131, s54                           // 000000009E00: D1ED0083 00DB078E
	v_perm_b32 v131, v143, v131, s55                           // 000000009E08: D1ED0083 00DF078F
	ds_write_b32 v13, v128 offset:25088                        // 000000009E10: D81A6200 0000800D
	ds_write_b32 v13, v129 offset:26112                        // 000000009E18: D81A6600 0000810D
	ds_write_b32 v13, v130 offset:27136                        // 000000009E20: D81A6A00 0000820D
	ds_write_b32 v13, v131 offset:28160                        // 000000009E28: D81A6E00 0000830D
	v_add_f32_e32 v224, v224, v192                             // 000000009E30: 03C181E0
	v_add_f32_e32 v225, v225, v193                             // 000000009E34: 03C383E1
	v_add_f32_e32 v226, v226, v194                             // 000000009E38: 03C585E2
	v_add_f32_e32 v227, v227, v195                             // 000000009E3C: 03C787E3
	v_add_f32_e32 v228, v228, v196                             // 000000009E40: 03C989E4
	v_add_f32_e32 v229, v229, v197                             // 000000009E44: 03CB8BE5
	v_add_f32_e32 v230, v230, v198                             // 000000009E48: 03CD8DE6
	v_add_f32_e32 v231, v231, v199                             // 000000009E4C: 03CF8FE7
	v_rcp_f32_e32 v58, v62                                     // 000000009E50: 7E74453E
	s_waitcnt lgkmcnt(0)                                       // 000000009E54: BF8CC07F
	s_barrier                                                  // 000000009E58: BF8A0000
	ds_read_b64 v[128:129], v12 offset:25088                   // 000000009E5C: D8EC6200 8000000C
	ds_read_b64 v[130:131], v12 offset:25216                   // 000000009E64: D8EC6280 8200000C
	ds_read_b64 v[132:133], v12 offset:26112                   // 000000009E6C: D8EC6600 8400000C
	ds_read_b64 v[134:135], v12 offset:26240                   // 000000009E74: D8EC6680 8600000C
	ds_read_b64 v[136:137], v12 offset:27136                   // 000000009E7C: D8EC6A00 8800000C
	ds_read_b64 v[138:139], v12 offset:27264                   // 000000009E84: D8EC6A80 8A00000C
	ds_read_b64 v[140:141], v12 offset:28160                   // 000000009E8C: D8EC6E00 8C00000C
	ds_read_b64 v[142:143], v12 offset:28288                   // 000000009E94: D8EC6E80 8E00000C
	s_waitcnt vmcnt(0)                                         // 000000009E9C: BF8C0F70
	s_barrier                                                  // 000000009EA0: BF8A0000
	s_waitcnt lgkmcnt(7)                                       // 000000009EA4: BF8CC77F
	v_mfma_i32_16x16x32_i8 v[192:195], a[96:97], v[128:129], 0 // 000000009EA8: D3D700C0 0A030160
	s_waitcnt lgkmcnt(6)                                       // 000000009EB0: BF8CC67F
	v_mfma_i32_16x16x32_i8 v[192:195], a[98:99], v[130:131], v[192:195]// 000000009EB4: D3D700C0 0F030562
	s_waitcnt lgkmcnt(5)                                       // 000000009EBC: BF8CC57F
	v_mfma_i32_16x16x32_i8 v[192:195], a[100:101], v[132:133], v[192:195]// 000000009EC0: D3D700C0 0F030964
	s_waitcnt lgkmcnt(4)                                       // 000000009EC8: BF8CC47F
	v_mfma_i32_16x16x32_i8 v[192:195], a[102:103], v[134:135], v[192:195]// 000000009ECC: D3D700C0 0F030D66
	s_waitcnt lgkmcnt(3)                                       // 000000009ED4: BF8CC37F
	v_mfma_i32_16x16x32_i8 v[192:195], a[104:105], v[136:137], v[192:195]// 000000009ED8: D3D700C0 0F031168
	s_waitcnt lgkmcnt(2)                                       // 000000009EE0: BF8CC27F
	v_mfma_i32_16x16x32_i8 v[192:195], a[106:107], v[138:139], v[192:195]// 000000009EE4: D3D700C0 0F03156A
	s_waitcnt lgkmcnt(1)                                       // 000000009EEC: BF8CC17F
	v_mfma_i32_16x16x32_i8 v[192:195], a[108:109], v[140:141], v[192:195]// 000000009EF0: D3D700C0 0F03196C
	s_waitcnt lgkmcnt(0)                                       // 000000009EF8: BF8CC07F
	v_mfma_i32_16x16x32_i8 v[192:195], a[110:111], v[142:143], v[192:195]// 000000009EFC: D3D700C0 0F031D6E
	v_mfma_i32_16x16x32_i8 v[196:199], a[112:113], v[128:129], 0// 000000009F04: D3D700C4 0A030170
	v_mfma_i32_16x16x32_i8 v[196:199], a[114:115], v[130:131], v[196:199]// 000000009F0C: D3D700C4 0F130572
	v_mfma_i32_16x16x32_i8 v[196:199], a[116:117], v[132:133], v[196:199]// 000000009F14: D3D700C4 0F130974
	v_mfma_i32_16x16x32_i8 v[196:199], a[118:119], v[134:135], v[196:199]// 000000009F1C: D3D700C4 0F130D76
	v_mfma_i32_16x16x32_i8 v[196:199], a[120:121], v[136:137], v[196:199]// 000000009F24: D3D700C4 0F131178
	v_mfma_i32_16x16x32_i8 v[196:199], a[122:123], v[138:139], v[196:199]// 000000009F2C: D3D700C4 0F13157A
	v_mfma_i32_16x16x32_i8 v[196:199], a[124:125], v[140:141], v[196:199]// 000000009F34: D3D700C4 0F13197C
	v_mfma_i32_16x16x32_i8 v[196:199], a[126:127], v[142:143], v[196:199]// 000000009F3C: D3D700C4 0F131D7E
	s_nop 4                                                    // 000000009F44: BF800004
	s_branch label_1F53                                        // 000000009F48: BF820000

0000000000009f4c <label_1F53>:
	v_mul_f32_e32 v224, v63, v224                              // 000000009F4C: 0BC1C13F
	v_mul_f32_e32 v225, v63, v225                              // 000000009F50: 0BC3C33F
	v_mul_f32_e32 v226, v63, v226                              // 000000009F54: 0BC5C53F
	v_mul_f32_e32 v227, v63, v227                              // 000000009F58: 0BC7C73F
	v_mul_f32_e32 v228, v63, v228                              // 000000009F5C: 0BC9C93F
	v_mul_f32_e32 v229, v63, v229                              // 000000009F60: 0BCBCB3F
	v_mul_f32_e32 v230, v63, v230                              // 000000009F64: 0BCDCD3F
	v_mul_f32_e32 v231, v63, v231                              // 000000009F68: 0BCFCF3F
	v_cvt_f32_i32_e32 v192, v192                               // 000000009F6C: 7F800BC0
	v_cvt_f32_i32_e32 v193, v193                               // 000000009F70: 7F820BC1
	v_cvt_f32_i32_e32 v194, v194                               // 000000009F74: 7F840BC2
	v_cvt_f32_i32_e32 v195, v195                               // 000000009F78: 7F860BC3
	v_cvt_f32_i32_e32 v196, v196                               // 000000009F7C: 7F880BC4
	v_cvt_f32_i32_e32 v197, v197                               // 000000009F80: 7F8A0BC5
	v_cvt_f32_i32_e32 v198, v198                               // 000000009F84: 7F8C0BC6
	v_cvt_f32_i32_e32 v199, v199                               // 000000009F88: 7F8E0BC7
	v_mul_f32_e32 v192, v58, v192                              // 000000009F8C: 0B81813A
	v_mul_f32_e32 v193, v58, v193                              // 000000009F90: 0B83833A
	v_mul_f32_e32 v194, v58, v194                              // 000000009F94: 0B85853A
	v_mul_f32_e32 v195, v58, v195                              // 000000009F98: 0B87873A
	v_mul_f32_e32 v196, v58, v196                              // 000000009F9C: 0B89893A
	v_mul_f32_e32 v197, v58, v197                              // 000000009FA0: 0B8B8B3A
	v_mul_f32_e32 v198, v58, v198                              // 000000009FA4: 0B8D8D3A
	v_mul_f32_e32 v199, v58, v199                              // 000000009FA8: 0B8F8F3A
	v_add_f32_e32 v224, v224, v192                             // 000000009FAC: 03C181E0
	v_add_f32_e32 v225, v225, v193                             // 000000009FB0: 03C383E1
	v_add_f32_e32 v226, v226, v194                             // 000000009FB4: 03C585E2
	v_add_f32_e32 v227, v227, v195                             // 000000009FB8: 03C787E3
	v_add_f32_e32 v228, v228, v196                             // 000000009FBC: 03C989E4
	v_add_f32_e32 v229, v229, v197                             // 000000009FC0: 03CB8BE5
	v_add_f32_e32 v230, v230, v198                             // 000000009FC4: 03CD8DE6
	v_add_f32_e32 v231, v231, v199                             // 000000009FC8: 03CF8FE7
	ds_write_b32 v11, v47 offset:16896                         // 000000009FCC: D81A4200 00002F0B
	s_waitcnt lgkmcnt(0)                                       // 000000009FD4: BF8CC07F
	s_barrier                                                  // 000000009FD8: BF8A0000
	ds_read_b32 v80, v10 offset:16896                          // 000000009FDC: D86C4200 5000000A
	ds_read_b32 v81, v10 offset:16960                          // 000000009FE4: D86C4240 5100000A
	ds_read_b32 v82, v10 offset:17024                          // 000000009FEC: D86C4280 5200000A
	ds_read_b32 v83, v10 offset:17088                          // 000000009FF4: D86C42C0 5300000A
	ds_read_b32 v84, v10 offset:17152                          // 000000009FFC: D86C4300 5400000A
	ds_read_b32 v85, v10 offset:17216                          // 00000000A004: D86C4340 5500000A
	ds_read_b32 v86, v10 offset:17280                          // 00000000A00C: D86C4380 5600000A
	ds_read_b32 v87, v10 offset:17344                          // 00000000A014: D86C43C0 5700000A
	ds_read_b32 v88, v10 offset:17408                          // 00000000A01C: D86C4400 5800000A
	ds_read_b32 v89, v10 offset:17472                          // 00000000A024: D86C4440 5900000A
	ds_read_b32 v90, v10 offset:17536                          // 00000000A02C: D86C4480 5A00000A
	ds_read_b32 v91, v10 offset:17600                          // 00000000A034: D86C44C0 5B00000A
	ds_read_b32 v92, v10 offset:17664                          // 00000000A03C: D86C4500 5C00000A
	ds_read_b32 v93, v10 offset:17728                          // 00000000A044: D86C4540 5D00000A
	ds_read_b32 v94, v10 offset:17792                          // 00000000A04C: D86C4580 5E00000A
	ds_read_b32 v95, v10 offset:17856                          // 00000000A054: D86C45C0 5F00000A
	s_waitcnt lgkmcnt(0)                                       // 00000000A05C: BF8CC07F
	v_mov_b32_e32 v47, 0                                       // 00000000A060: 7E5E0280
	v_add_f32_e32 v47, v80, v47                                // 00000000A064: 025E5F50
	v_add_f32_e32 v47, v81, v47                                // 00000000A068: 025E5F51
	v_add_f32_e32 v47, v82, v47                                // 00000000A06C: 025E5F52
	v_add_f32_e32 v47, v83, v47                                // 00000000A070: 025E5F53
	v_add_f32_e32 v47, v84, v47                                // 00000000A074: 025E5F54
	v_add_f32_e32 v47, v85, v47                                // 00000000A078: 025E5F55
	v_add_f32_e32 v47, v86, v47                                // 00000000A07C: 025E5F56
	v_add_f32_e32 v47, v87, v47                                // 00000000A080: 025E5F57
	v_add_f32_e32 v47, v88, v47                                // 00000000A084: 025E5F58
	v_add_f32_e32 v47, v89, v47                                // 00000000A088: 025E5F59
	v_add_f32_e32 v47, v90, v47                                // 00000000A08C: 025E5F5A
	v_add_f32_e32 v47, v91, v47                                // 00000000A090: 025E5F5B
	v_add_f32_e32 v47, v92, v47                                // 00000000A094: 025E5F5C
	v_add_f32_e32 v47, v93, v47                                // 00000000A098: 025E5F5D
	v_add_f32_e32 v47, v94, v47                                // 00000000A09C: 025E5F5E
	v_add_f32_e32 v47, v95, v47                                // 00000000A0A0: 025E5F5F
	s_nop 1                                                    // 00000000A0A4: BF800001
	v_rcp_f32_e32 v47, v47                                     // 00000000A0A8: 7E5E452F
	s_nop 1                                                    // 00000000A0AC: BF800001
	v_mul_f32_e32 v224, v47, v224                              // 00000000A0B0: 0BC1C12F
	v_mul_f32_e32 v225, v47, v225                              // 00000000A0B4: 0BC3C32F
	v_mul_f32_e32 v226, v47, v226                              // 00000000A0B8: 0BC5C52F
	v_mul_f32_e32 v227, v47, v227                              // 00000000A0BC: 0BC7C72F
	v_mul_f32_e32 v228, v47, v228                              // 00000000A0C0: 0BC9C92F
	v_mul_f32_e32 v229, v47, v229                              // 00000000A0C4: 0BCBCB2F
	v_mul_f32_e32 v230, v47, v230                              // 00000000A0C8: 0BCDCD2F
	v_mul_f32_e32 v231, v47, v231                              // 00000000A0CC: 0BCFCF2F
	v_cvt_pkrtz_f16_f32 v41, v224, v225                        // 00000000A0D0: D2960029 0003C3E0
	v_mov_b32_e32 v224, v41                                    // 00000000A0D8: 7FC00329
	v_cvt_pkrtz_f16_f32 v41, v226, v227                        // 00000000A0DC: D2960029 0003C7E2
	v_mov_b32_e32 v225, v41                                    // 00000000A0E4: 7FC20329
	v_cvt_pkrtz_f16_f32 v41, v228, v229                        // 00000000A0E8: D2960029 0003CBE4
	v_mov_b32_e32 v226, v41                                    // 00000000A0F0: 7FC40329
	v_cvt_pkrtz_f16_f32 v41, v230, v231                        // 00000000A0F4: D2960029 0003CFE6
	v_mov_b32_e32 v227, v41                                    // 00000000A0FC: 7FC60329
	s_nop 1                                                    // 00000000A100: BF800001
	v_lshrrev_b32_e32 v41, 4, v0                               // 00000000A104: 20520084
	v_mul_i32_i24_e32 v45, 34, v41                             // 00000000A108: 0C5A52A2
	v_and_b32_e32 v41, 15, v0                                  // 00000000A10C: 2652008F
	v_mul_i32_i24_e32 v42, 2, v41                              // 00000000A110: 0C545282
	v_add_u32_e32 v45, v42, v45                                // 00000000A114: 685A5B2A
	s_mul_i32 s60, s7, 0x88                                    // 00000000A118: 923CFF07 00000088
	v_add_u32_e32 v45, s60, v45                                // 00000000A120: 685A5A3C
	v_lshlrev_b32_e32 v45, 2, v45                              // 00000000A124: 245A5A82
	ds_write_b64 v45, v[224:225] offset:41472                  // 00000000A128: D89AA200 0000E02D
	ds_write_b64 v45, v[226:227] offset:43648                  // 00000000A130: D89AAA80 0000E22D
	v_lshrrev_b32_e32 v41, 1, v0                               // 00000000A138: 20520081
	v_mul_i32_i24_e32 v45, 34, v41                             // 00000000A13C: 0C5A52A2
	v_and_b32_e32 v42, 1, v0                                   // 00000000A140: 26540081
	v_add_u32_e32 v45, v42, v45                                // 00000000A144: 685A5B2A
	s_mul_i32 s60, s7, 2                                       // 00000000A148: 923C8207
	v_add_u32_e32 v45, s60, v45                                // 00000000A14C: 685A5A3C
	v_lshlrev_b32_e32 v45, 2, v45                              // 00000000A150: 245A5A82
	s_waitcnt lgkmcnt(0)                                       // 00000000A154: BF8CC07F
	s_barrier                                                  // 00000000A158: BF8A0000
	ds_read_b32 v224, v45 offset:41472                         // 00000000A15C: D86CA200 E000002D
	ds_read_b32 v225, v45 offset:41504                         // 00000000A164: D86CA220 E100002D
	ds_read_b32 v226, v45 offset:41536                         // 00000000A16C: D86CA240 E200002D
	ds_read_b32 v227, v45 offset:41568                         // 00000000A174: D86CA260 E300002D
	s_mul_i32 s60, s7, 0x100                                   // 00000000A17C: 923CFF07 00000100
	v_lshlrev_b32_e32 v41, 2, v0                               // 00000000A184: 24520082
	v_add_u32_e64 v41, v41, s60                                // 00000000A188: D1340029 00007929
	s_waitcnt lgkmcnt(0)                                       // 00000000A190: BF8CC07F
	buffer_store_dword v224, v41, s[8:11], 0 offen             // 00000000A194: E0701000 8002E029
	buffer_store_dword v225, v41, s[8:11], 0 offen offset:1024 // 00000000A19C: E0701400 8002E129
	s_add_u32 s8, s75, s8                                      // 00000000A1A4: 8008084B
	s_addc_u32 s9, 0, s9                                       // 00000000A1A8: 82090980
	buffer_store_dword v226, v41, s[8:11], 0 offen             // 00000000A1AC: E0701000 8002E229
	buffer_store_dword v227, v41, s[8:11], 0 offen offset:1024 // 00000000A1B4: E0701400 8002E329
	s_add_u32 s8, s75, s8                                      // 00000000A1BC: 8008084B
	s_addc_u32 s9, 0, s9                                       // 00000000A1C0: 82090980
	s_branch label_41A4                                        // 00000000A1C4: BF8221B2

000000000000a1c8 <label_1FF2>:
	s_mov_b32 s88, 0xa0                                        // 00000000A1C8: BED800FF 000000A0

000000000000a1d0 <label_1FF4>:
	s_mul_i32 s60, s3, s65                                     // 00000000A1D0: 923C4103
	s_mul_i32 s60, s60, 4                                      // 00000000A1D4: 923C843C
	s_add_u32 s24, s60, s24                                    // 00000000A1D8: 8018183C
	s_addc_u32 s25, 0, s25                                     // 00000000A1DC: 82191980
	s_mov_b32 s56, 64                                          // 00000000A1E0: BEB800C0
	s_add_u32 s73, s72, 15                                     // 00000000A1E4: 80498F48
	s_lshr_b32 s73, s73, 4                                     // 00000000A1E8: 8F498449
	s_mul_i32 s60, s73, 4                                      // 00000000A1EC: 923C8449
	s_mov_b32 s26, s60                                         // 00000000A1F0: BE9A003C
	v_and_b32_e32 v42, 3, v0                                   // 00000000A1F4: 26540083
	v_cmp_eq_u32_e64 s[60:61], 0, v42                          // 00000000A1F8: D0CA003C 00025480
	v_and_b32_e32 v41, 12, v0                                  // 00000000A200: 2652008C
	v_add_u32_e32 v1, s7, v41                                  // 00000000A204: 68025207
	v_cndmask_b32_e64 v1, 0, v1, s[60:61]                      // 00000000A208: D1000001 00F20280
	v_and_b32_e32 v42, 3, v0                                   // 00000000A210: 26540083
	v_cmp_eq_u32_e64 s[60:61], 1, v42                          // 00000000A214: D0CA003C 00025481
	v_lshrrev_b32_e32 v41, 4, v0                               // 00000000A21C: 20520084
	v_and_b32_e32 v42, 12, v0                                  // 00000000A220: 2654008C
	v_add_u32_e32 v41, v42, v41                                // 00000000A224: 6852532A
	v_cndmask_b32_e64 v41, 0, v41, s[60:61]                    // 00000000A228: D1000029 00F25280
	v_add_u32_e32 v1, v1, v41                                  // 00000000A230: 68025301
	v_lshlrev_b32_e32 v1, 2, v1                                // 00000000A234: 24020282
	buffer_load_dword v19, v1, s[24:27], 0 offen               // 00000000A238: E0501000 80061301
	v_add_u32_e32 v1, s56, v1                                  // 00000000A240: 68020238
	buffer_load_dword v20, v1, s[24:27], 0 offen               // 00000000A244: E0501000 80061401
	s_cmp_le_u32 s73, 32                                       // 00000000A24C: BF0BA049
	s_cselect_b32 s56, 0, s56                                  // 00000000A250: 85383880
	s_mul_i32 s60, s2, s67                                     // 00000000A254: 923C4302
	s_mul_i32 s61, s84, s74                                    // 00000000A258: 923D4A54
	s_add_u32 s60, s60, s61                                    // 00000000A25C: 803C3D3C
	s_add_u32 s12, s60, s12                                    // 00000000A260: 800C0C3C
	s_addc_u32 s13, 0, s13                                     // 00000000A264: 820D0D80
	s_mul_i32 s60, s7, 0x108                                   // 00000000A268: 923CFF07 00000108
	s_add_u32 m0, 0, s60                                       // 00000000A270: 807C3C80
	s_mul_i32 s60, s7, 0x100                                   // 00000000A274: 923CFF07 00000100
	v_lshlrev_b32_e32 v41, 2, v0                               // 00000000A27C: 24520082
	v_add_u32_e64 v41, v41, s60                                // 00000000A280: D1340029 00007929
	v_add_u32_e32 v42, 0x400, v41                              // 00000000A288: 685452FF 00000400
	buffer_load_dword v41, s[12:15], 0 offen lds               // 00000000A290: E0511000 80030029
	s_mul_i32 s60, 4, 0x108                                    // 00000000A298: 923CFF84 00000108
	s_add_u32 m0, m0, s60                                      // 00000000A2A0: 807C3C7C
	buffer_load_dword v42, s[12:15], 0 offen lds               // 00000000A2A4: E0511000 8003002A
	s_mul_i32 s60, 4, 0x108                                    // 00000000A2AC: 923CFF84 00000108
	s_add_u32 m0, m0, s60                                      // 00000000A2B4: 807C3C7C
	s_add_u32 s12, s74, s12                                    // 00000000A2B8: 800C0C4A
	s_addc_u32 s13, 0, s13                                     // 00000000A2BC: 820D0D80
	buffer_load_dword v41, s[12:15], 0 offen lds               // 00000000A2C0: E0511000 80030029
	s_mul_i32 s60, 4, 0x108                                    // 00000000A2C8: 923CFF84 00000108
	s_add_u32 m0, m0, s60                                      // 00000000A2D0: 807C3C7C
	buffer_load_dword v42, s[12:15], 0 offen lds               // 00000000A2D4: E0511000 8003002A
	s_mul_i32 s60, 4, 0x108                                    // 00000000A2DC: 923CFF84 00000108
	s_add_u32 m0, m0, s60                                      // 00000000A2E4: 807C3C7C
	s_add_u32 s12, s74, s12                                    // 00000000A2E8: 800C0C4A
	s_addc_u32 s13, 0, s13                                     // 00000000A2EC: 820D0D80
	buffer_load_dword v41, s[12:15], 0 offen lds               // 00000000A2F0: E0511000 80030029
	s_mul_i32 s60, 4, 0x108                                    // 00000000A2F8: 923CFF84 00000108
	s_add_u32 m0, m0, s60                                      // 00000000A300: 807C3C7C
	buffer_load_dword v42, s[12:15], 0 offen lds               // 00000000A304: E0511000 8003002A
	s_mul_i32 s60, 4, 0x108                                    // 00000000A30C: 923CFF84 00000108
	s_add_u32 m0, m0, s60                                      // 00000000A314: 807C3C7C
	s_add_u32 s12, s74, s12                                    // 00000000A318: 800C0C4A
	s_addc_u32 s13, 0, s13                                     // 00000000A31C: 820D0D80
	buffer_load_dword v41, s[12:15], 0 offen lds               // 00000000A320: E0511000 80030029
	s_mul_i32 s60, 4, 0x108                                    // 00000000A328: 923CFF84 00000108
	s_add_u32 m0, m0, s60                                      // 00000000A330: 807C3C7C
	buffer_load_dword v42, s[12:15], 0 offen lds               // 00000000A334: E0511000 8003002A
	s_mul_i32 s60, 4, 0x108                                    // 00000000A33C: 923CFF84 00000108
	s_add_u32 m0, m0, s60                                      // 00000000A344: 807C3C7C
	s_add_u32 s12, s74, s12                                    // 00000000A348: 800C0C4A
	s_addc_u32 s13, 0, s13                                     // 00000000A34C: 820D0D80
	v_lshrrev_b32_e32 v41, 4, v0                               // 00000000A350: 20520084
	v_lshlrev_b32_e32 v41, 2, v41                              // 00000000A354: 24525282
	v_and_b32_e32 v42, 3, v0                                   // 00000000A358: 26540083
	v_add_u32_e32 v41, v42, v41                                // 00000000A35C: 6852532A
	v_lshlrev_b32_e32 v74, 2, v41                              // 00000000A360: 24945282
	v_mov_b32_e32 v75, v74                                     // 00000000A364: 7E96034A
	s_mul_i32 s60, s2, 64                                      // 00000000A368: 923CC002
	s_add_u32 s32, s60, s32                                    // 00000000A36C: 8020203C
	s_addc_u32 s33, 0, s33                                     // 00000000A370: 82212180
	s_add_u32 s36, s60, s36                                    // 00000000A374: 8024243C
	s_addc_u32 s37, 0, s37                                     // 00000000A378: 82252580
	s_mul_i32 s60, s2, s76                                     // 00000000A37C: 923C4C02
	s_mul_i32 s61, s84, s75                                    // 00000000A380: 923D4B54
	s_add_u32 s60, s60, s61                                    // 00000000A384: 803C3D3C
	s_add_u32 s8, s60, s8                                      // 00000000A388: 8008083C
	s_addc_u32 s9, 0, s9                                       // 00000000A38C: 82090980
	s_mov_b32 s70, 0                                           // 00000000A390: BEC60080
	s_and_b32 s71, s72, 0xffffff00                             // 00000000A394: 8647FF48 FFFFFF00
	s_mov_b32 s42, 0xff00ff00                                  // 00000000A39C: BEAA00FF FF00FF00
	s_mov_b32 s43, 0xff00ff00                                  // 00000000A3A4: BEAB00FF FF00FF00
	s_mov_b32 s44, 0xf0f0f0f0                                  // 00000000A3AC: BEAC00FF F0F0F0F0
	s_mov_b32 s45, 0xf0f0f0f0                                  // 00000000A3B4: BEAD00FF F0F0F0F0
	s_mov_b32 s78, 0xff00ff                                    // 00000000A3BC: BECE00FF 00FF00FF
	s_mov_b32 s79, 0xff00ff                                    // 00000000A3C4: BECF00FF 00FF00FF
	v_mul_i32_i24_e64 v78, 64, s66                             // 00000000A3CC: D106004E 000084C0
	v_mov_b32_e32 v68, s68                                     // 00000000A3D4: 7E880244
	s_mov_b32 s52, 0x7060302                                   // 00000000A3D8: BEB400FF 07060302
	s_mov_b32 s53, 0x400                                       // 00000000A3E0: BEB500FF 00000400
	s_mov_b32 s54, 0x40100                                     // 00000000A3E8: BEB600FF 00040100
	s_mov_b32 s55, 0x4020100                                   // 00000000A3F0: BEB700FF 04020100
	s_mov_b32 s6, 0x3fb8aa3b                                   // 00000000A3F8: BE8600FF 3FB8AA3B
	v_mov_b32_e32 v14, 0xff800000                              // 00000000A400: 7E1C02FF FF800000
	v_mov_b32_e32 v15, 0xff800000                              // 00000000A408: 7E1E02FF FF800000
	v_mov_b32_e32 v63, 0                                       // 00000000A410: 7E7E0280
	v_mov_b32_e32 v64, 0                                       // 00000000A414: 7E800280
	v_mov_b32_e32 v47, 0                                       // 00000000A418: 7E5E0280
	v_mov_b32_e32 v48, 0                                       // 00000000A41C: 7E600280
	v_mov_b32_e32 v58, 0                                       // 00000000A420: 7E740280
	v_mov_b32_e32 v59, 0                                       // 00000000A424: 7E760280
	v_mov_b32_e32 v22, 0xffff0000                              // 00000000A428: 7E2C02FF FFFF0000
	v_mov_b32_e32 v23, 0x7fff0000                              // 00000000A430: 7E2E02FF 7FFF0000
	v_mov_b32_e32 v24, 0x7fff                                  // 00000000A438: 7E3002FF 00007FFF
	v_add_u32_e32 v1, s56, v1                                  // 00000000A440: 68020238
	v_and_b32_e32 v10, 15, v0                                  // 00000000A444: 2614008F
	v_lshlrev_b32_e32 v10, 2, v10                              // 00000000A448: 24141482
	v_lshlrev_b32_e32 v11, 2, v0                               // 00000000A44C: 24160082
	s_mul_i32 s60, 0x100, s7                                   // 00000000A450: 923C07FF 00000100
	v_add_u32_e32 v11, s60, v11                                // 00000000A458: 6816163C
	v_lshrrev_b32_e32 v41, 4, v0                               // 00000000A45C: 20520084
	v_lshlrev_b32_e32 v42, 6, v41                              // 00000000A460: 24545286
	v_and_b32_e32 v41, 15, v0                                  // 00000000A464: 2652008F
	v_lshlrev_b32_e32 v41, 1, v41                              // 00000000A468: 24525281
	v_add_u32_e32 v42, v41, v42                                // 00000000A46C: 68545529
	v_lshlrev_b32_e32 v12, 2, v42                              // 00000000A470: 24185482
	v_lshrrev_b32_e32 v41, 5, v0                               // 00000000A474: 20520085
	v_lshlrev_b32_e32 v42, 5, v41                              // 00000000A478: 24545285
	v_and_b32_e32 v41, 31, v0                                  // 00000000A47C: 2652009F
	v_lshrrev_b32_e32 v43, 4, v41                              // 00000000A480: 20565284
	v_add_u32_e32 v42, v43, v42                                // 00000000A484: 6854552B
	v_and_b32_e32 v41, 15, v0                                  // 00000000A488: 2652008F
	v_lshlrev_b32_e32 v41, 1, v41                              // 00000000A48C: 24525281
	v_add_u32_e32 v42, v41, v42                                // 00000000A490: 68545529
	v_lshlrev_b32_e32 v41, 2, v42                              // 00000000A494: 24525482
	s_mul_i32 s60, 0x100, s7                                   // 00000000A498: 923C07FF 00000100
	v_add_u32_e64 v13, v41, s60                                // 00000000A4A0: D134000D 00007929
	v_lshlrev_b32_e32 v6, 4, v0                                // 00000000A4A8: 240C0084
	s_mul_i32 s60, s2, s69                                     // 00000000A4AC: 923C4502
	s_add_u32 s16, s60, s16                                    // 00000000A4B0: 8010103C
	s_addc_u32 s17, 0, s17                                     // 00000000A4B4: 82111180
	v_and_b32_e32 v41, 15, v0                                  // 00000000A4B8: 2652008F
	v_lshlrev_b32_e32 v7, 4, v41                               // 00000000A4BC: 240E5284
	s_mul_i32 s61, s2, s69                                     // 00000000A4C0: 923D4502
	s_mul_i32 s60, s7, 0x100                                   // 00000000A4C4: 923CFF07 00000100
	s_add_u32 s60, s60, s61                                    // 00000000A4CC: 803C3D3C
	s_add_u32 s20, s60, s20                                    // 00000000A4D0: 8014143C
	s_addc_u32 s21, 0, s21                                     // 00000000A4D4: 82151580
	s_waitcnt vmcnt(4)                                         // 00000000A4D8: BF8C0F74
	v_mul_u32_u24_dpp v41, v19, v68 row_newbcast:0 row_mask:0xf bank_mask:0xf// 00000000A4DC: 105288FA FF015013
	v_mul_u32_u24_dpp v42, v19, v68 row_newbcast:4 row_mask:0xf bank_mask:0xf// 00000000A4E4: 105488FA FF015413
	v_mul_u32_u24_dpp v43, v19, v68 row_newbcast:8 row_mask:0xf bank_mask:0xf// 00000000A4EC: 105688FA FF015813
	v_mul_u32_u24_dpp v44, v19, v68 row_newbcast:12 row_mask:0xf bank_mask:0xf// 00000000A4F4: 105888FA FF015C13
	v_add_u32_e32 v25, v41, v6                                 // 00000000A4FC: 68320D29
	v_add_u32_e32 v26, v42, v6                                 // 00000000A500: 68340D2A
	v_add_u32_e32 v27, v43, v6                                 // 00000000A504: 68360D2B
	v_add_u32_e32 v28, v44, v6                                 // 00000000A508: 68380D2C
	v_mul_u32_u24_dpp v41, v19, v68 row_newbcast:1 row_mask:0xf bank_mask:0xf// 00000000A50C: 105288FA FF015113
	v_mul_u32_u24_dpp v42, v19, v68 row_newbcast:5 row_mask:0xf bank_mask:0xf// 00000000A514: 105488FA FF015513
	v_mul_u32_u24_dpp v43, v19, v68 row_newbcast:9 row_mask:0xf bank_mask:0xf// 00000000A51C: 105688FA FF015913
	v_mul_u32_u24_dpp v44, v19, v68 row_newbcast:13 row_mask:0xf bank_mask:0xf// 00000000A524: 105888FA FF015D13
	v_add_u32_e32 v33, v41, v7                                 // 00000000A52C: 68420F29
	v_add_u32_e32 v34, v42, v7                                 // 00000000A530: 68440F2A
	v_add_u32_e32 v35, v43, v7                                 // 00000000A534: 68460F2B
	v_add_u32_e32 v36, v44, v7                                 // 00000000A538: 68480F2C
	v_mul_u32_u24_dpp v41, v19, v78 quad_perm:[0,0,0,0] row_mask:0xf bank_mask:0xf// 00000000A53C: 10529CFA FF000013
	v_add_u32_e32 v2, v41, v74                                 // 00000000A544: 68049529
	v_mul_u32_u24_dpp v41, v19, v78 quad_perm:[0,0,0,0] row_mask:0xf bank_mask:0xf// 00000000A548: 10529CFA FF000013
	v_add_u32_e32 v70, v41, v75                                // 00000000A550: 688C9729
	buffer_load_dword v52, v2, s[32:35], 0 offen               // 00000000A554: E0501000 80083402
	buffer_load_dwordx4 a[0:3], v25, s[16:19], 0 offen         // 00000000A55C: E05C1000 80840019
	buffer_load_dwordx4 a[4:7], v25, s[16:19], 0 offen offset:1024// 00000000A564: E05C1400 80840419
	buffer_load_dwordx4 a[8:11], v26, s[16:19], 0 offen        // 00000000A56C: E05C1000 8084081A
	buffer_load_dwordx4 a[12:15], v26, s[16:19], 0 offen offset:1024// 00000000A574: E05C1400 80840C1A
	buffer_load_dwordx4 a[16:19], v27, s[16:19], 0 offen       // 00000000A57C: E05C1000 8084101B
	buffer_load_dwordx4 a[20:23], v27, s[16:19], 0 offen offset:1024// 00000000A584: E05C1400 8084141B
	buffer_load_dwordx4 a[24:27], v28, s[16:19], 0 offen       // 00000000A58C: E05C1000 8084181C
	buffer_load_dwordx4 a[28:31], v28, s[16:19], 0 offen offset:1024// 00000000A594: E05C1400 80841C1C
	buffer_load_dword v72, v70, s[36:39], 0 offen              // 00000000A59C: E0501000 80094846
	buffer_load_dwordx4 a[64:67], v33, s[20:23], 0 offen       // 00000000A5A4: E05C1000 80854021
	buffer_load_dwordx4 a[68:71], v34, s[20:23], 0 offen       // 00000000A5AC: E05C1000 80854422
	buffer_load_dwordx4 a[72:75], v35, s[20:23], 0 offen       // 00000000A5B4: E05C1000 80854823
	buffer_load_dwordx4 a[76:79], v36, s[20:23], 0 offen       // 00000000A5BC: E05C1000 80854C24
	buffer_load_dwordx4 a[80:83], v33, s[20:23], 0 offen offset:1024// 00000000A5C4: E05C1400 80855021
	buffer_load_dwordx4 a[84:87], v34, s[20:23], 0 offen offset:1024// 00000000A5CC: E05C1400 80855422
	buffer_load_dwordx4 a[88:91], v35, s[20:23], 0 offen offset:1024// 00000000A5D4: E05C1400 80855823
	buffer_load_dwordx4 a[92:95], v36, s[20:23], 0 offen offset:1024// 00000000A5DC: E05C1400 80855C24
	v_lshrrev_b32_e32 v41, 4, v0                               // 00000000A5E4: 20520084
	v_lshlrev_b32_e32 v42, 1, v41                              // 00000000A5E8: 24545281
	v_and_b32_e32 v41, 15, v0                                  // 00000000A5EC: 2652008F
	v_mul_i32_i24_e32 v41, 0x42, v41                           // 00000000A5F0: 0C5252FF 00000042
	v_add_u32_e32 v42, v41, v42                                // 00000000A5F8: 68545529
	v_lshlrev_b32_e32 v4, 2, v42                               // 00000000A5FC: 24085482
	s_mul_i32 s60, s7, 32                                      // 00000000A600: 923CA007
	v_add_u32_e32 v4, s60, v4                                  // 00000000A604: 6808083C
	s_waitcnt vmcnt(16) lgkmcnt(0)                             // 00000000A608: BF8C4070
	s_barrier                                                  // 00000000A60C: BF8A0000
	ds_read_b64 v[96:97], v4                                   // 00000000A610: D8EC0000 60000004
	ds_read_b64 v[100:101], v4 offset:128                      // 00000000A618: D8EC0080 64000004
	s_waitcnt lgkmcnt(0)                                       // 00000000A620: BF8CC07F
	v_and_b32_e32 v41, 0xffff, v96                             // 00000000A624: 2652C0FF 0000FFFF
	v_lshrrev_b32_e32 v42, 16, v96                             // 00000000A62C: 2054C090
	v_and_b32_e32 v43, 0xffff, v97                             // 00000000A630: 2656C2FF 0000FFFF
	v_lshrrev_b32_e32 v44, 16, v97                             // 00000000A638: 2058C290
	v_cvt_f32_f16_e32 v96, v41                                 // 00000000A63C: 7EC01729
	v_cvt_f32_f16_e32 v97, v42                                 // 00000000A640: 7EC2172A
	v_cvt_f32_f16_e32 v98, v43                                 // 00000000A644: 7EC4172B
	v_cvt_f32_f16_e32 v99, v44                                 // 00000000A648: 7EC6172C
	v_and_b32_e32 v41, 0xffff, v100                            // 00000000A64C: 2652C8FF 0000FFFF
	v_lshrrev_b32_e32 v42, 16, v100                            // 00000000A654: 2054C890
	v_and_b32_e32 v43, 0xffff, v101                            // 00000000A658: 2656CAFF 0000FFFF
	v_lshrrev_b32_e32 v44, 16, v101                            // 00000000A660: 2058CA90
	v_cvt_f32_f16_e32 v100, v41                                // 00000000A664: 7EC81729
	v_cvt_f32_f16_e32 v101, v42                                // 00000000A668: 7ECA172A
	v_cvt_f32_f16_e32 v102, v43                                // 00000000A66C: 7ECC172B
	v_cvt_f32_f16_e32 v103, v44                                // 00000000A670: 7ECE172C
	v_mov_b32_e32 v62, 0x358637bd                              // 00000000A674: 7E7C02FF 358637BD
	v_max3_f32 v62, |v96|, |v97|, v62                          // 00000000A67C: D1D3033E 04FAC360
	v_max3_f32 v62, |v98|, |v99|, v62                          // 00000000A684: D1D3033E 04FAC762
	v_max3_f32 v62, |v100|, |v101|, v62                        // 00000000A68C: D1D3033E 04FACB64
	v_max3_f32 v62, |v102|, |v103|, v62                        // 00000000A694: D1D3033E 04FACF66
	ds_write_b32 v11, v62 offset:16896                         // 00000000A69C: D81A4200 00003E0B
	s_waitcnt lgkmcnt(0)                                       // 00000000A6A4: BF8CC07F
	s_barrier                                                  // 00000000A6A8: BF8A0000
	ds_read_b32 v80, v10 offset:16896                          // 00000000A6AC: D86C4200 5000000A
	ds_read_b32 v81, v10 offset:16960                          // 00000000A6B4: D86C4240 5100000A
	ds_read_b32 v82, v10 offset:17024                          // 00000000A6BC: D86C4280 5200000A
	ds_read_b32 v83, v10 offset:17088                          // 00000000A6C4: D86C42C0 5300000A
	ds_read_b32 v84, v10 offset:17152                          // 00000000A6CC: D86C4300 5400000A
	ds_read_b32 v85, v10 offset:17216                          // 00000000A6D4: D86C4340 5500000A
	ds_read_b32 v86, v10 offset:17280                          // 00000000A6DC: D86C4380 5600000A
	ds_read_b32 v87, v10 offset:17344                          // 00000000A6E4: D86C43C0 5700000A
	ds_read_b32 v88, v10 offset:17408                          // 00000000A6EC: D86C4400 5800000A
	ds_read_b32 v89, v10 offset:17472                          // 00000000A6F4: D86C4440 5900000A
	ds_read_b32 v90, v10 offset:17536                          // 00000000A6FC: D86C4480 5A00000A
	ds_read_b32 v91, v10 offset:17600                          // 00000000A704: D86C44C0 5B00000A
	ds_read_b32 v92, v10 offset:17664                          // 00000000A70C: D86C4500 5C00000A
	ds_read_b32 v93, v10 offset:17728                          // 00000000A714: D86C4540 5D00000A
	ds_read_b32 v94, v10 offset:17792                          // 00000000A71C: D86C4580 5E00000A
	ds_read_b32 v95, v10 offset:17856                          // 00000000A724: D86C45C0 5F00000A
	s_waitcnt lgkmcnt(0)                                       // 00000000A72C: BF8CC07F
	v_max3_f32 v62, |v80|, |v81|, v62                          // 00000000A730: D1D3033E 04FAA350
	v_max3_f32 v62, |v82|, |v83|, v62                          // 00000000A738: D1D3033E 04FAA752
	v_max3_f32 v62, |v84|, |v85|, v62                          // 00000000A740: D1D3033E 04FAAB54
	v_max3_f32 v62, |v86|, |v87|, v62                          // 00000000A748: D1D3033E 04FAAF56
	v_max3_f32 v62, |v88|, |v89|, v62                          // 00000000A750: D1D3033E 04FAB358
	v_max3_f32 v62, |v90|, |v91|, v62                          // 00000000A758: D1D3033E 04FAB75A
	v_max3_f32 v62, |v92|, |v93|, v62                          // 00000000A760: D1D3033E 04FABB5C
	v_max3_f32 v62, |v94|, |v95|, v62                          // 00000000A768: D1D3033E 04FABF5E
	v_rcp_f32_e32 v62, v62                                     // 00000000A770: 7E7C453E
	s_nop 1                                                    // 00000000A774: BF800001
	v_mul_f32_e32 v62, 0x42fe0000, v62                         // 00000000A778: 0A7C7CFF 42FE0000
	v_mul_f32_e32 v96, v62, v96                                // 00000000A780: 0AC0C13E
	v_mul_f32_e32 v97, v62, v97                                // 00000000A784: 0AC2C33E
	v_mul_f32_e32 v98, v62, v98                                // 00000000A788: 0AC4C53E
	v_mul_f32_e32 v99, v62, v99                                // 00000000A78C: 0AC6C73E
	v_mul_f32_e32 v100, v62, v100                              // 00000000A790: 0AC8C93E
	v_mul_f32_e32 v101, v62, v101                              // 00000000A794: 0ACACB3E
	v_mul_f32_e32 v102, v62, v102                              // 00000000A798: 0ACCCD3E
	v_mul_f32_e32 v103, v62, v103                              // 00000000A79C: 0ACECF3E
	v_cvt_i32_f32_e32 v96, v96                                 // 00000000A7A0: 7EC01160
	v_cvt_i32_f32_e32 v97, v97                                 // 00000000A7A4: 7EC21161
	v_cvt_i32_f32_e32 v98, v98                                 // 00000000A7A8: 7EC41162
	v_cvt_i32_f32_e32 v99, v99                                 // 00000000A7AC: 7EC61163
	v_cvt_i32_f32_e32 v100, v100                               // 00000000A7B0: 7EC81164
	v_cvt_i32_f32_e32 v101, v101                               // 00000000A7B4: 7ECA1165
	v_cvt_i32_f32_e32 v102, v102                               // 00000000A7B8: 7ECC1166
	v_cvt_i32_f32_e32 v103, v103                               // 00000000A7BC: 7ECE1167
	v_rcp_f32_e32 v54, v62                                     // 00000000A7C0: 7E6C453E
	v_perm_b32 v96, v97, v96, s53                              // 00000000A7C4: D1ED0060 00D6C161
	v_perm_b32 v96, v98, v96, s54                              // 00000000A7CC: D1ED0060 00DAC162
	v_perm_b32 v96, v99, v96, s55                              // 00000000A7D4: D1ED0060 00DEC163
	v_perm_b32 v97, v101, v100, s53                            // 00000000A7DC: D1ED0061 00D6C965
	v_perm_b32 v97, v102, v97, s54                             // 00000000A7E4: D1ED0061 00DAC366
	v_perm_b32 v97, v103, v97, s55                             // 00000000A7EC: D1ED0061 00DEC367
	ds_write_b32 v13, v96 offset:25088                         // 00000000A7F4: D81A6200 0000600D
	ds_write_b32 v13, v97 offset:26112                         // 00000000A7FC: D81A6600 0000610D
	s_waitcnt lgkmcnt(0)                                       // 00000000A804: BF8CC07F
	s_barrier                                                  // 00000000A808: BF8A0000
	ds_read_b64 v[96:97], v12 offset:25088                     // 00000000A80C: D8EC6200 6000000C
	ds_read_b64 v[98:99], v12 offset:25216                     // 00000000A814: D8EC6280 6200000C
	ds_read_b64 v[100:101], v12 offset:26112                   // 00000000A81C: D8EC6600 6400000C
	ds_read_b64 v[102:103], v12 offset:26240                   // 00000000A824: D8EC6680 6600000C
	v_mov_b32_e32 v224, 0                                      // 00000000A82C: 7FC00280
	v_mov_b32_e32 v225, 0                                      // 00000000A830: 7FC20280
	v_mov_b32_e32 v226, 0                                      // 00000000A834: 7FC40280
	v_mov_b32_e32 v227, 0                                      // 00000000A838: 7FC60280
	v_mov_b32_e32 v228, 0                                      // 00000000A83C: 7FC80280
	v_mov_b32_e32 v229, 0                                      // 00000000A840: 7FCA0280
	v_mov_b32_e32 v230, 0                                      // 00000000A844: 7FCC0280
	v_mov_b32_e32 v231, 0                                      // 00000000A848: 7FCE0280
	v_mov_b32_e32 v192, 0                                      // 00000000A84C: 7F800280
	v_mov_b32_e32 v193, 0                                      // 00000000A850: 7F820280
	v_mov_b32_e32 v194, 0                                      // 00000000A854: 7F840280
	v_mov_b32_e32 v195, 0                                      // 00000000A858: 7F860280
	v_mov_b32_e32 v196, 0                                      // 00000000A85C: 7F880280
	v_mov_b32_e32 v197, 0                                      // 00000000A860: 7F8A0280
	v_mov_b32_e32 v198, 0                                      // 00000000A864: 7F8C0280
	v_mov_b32_e32 v199, 0                                      // 00000000A868: 7F8E0280
	ds_read_b64 v[104:105], v4 offset:4224                     // 00000000A86C: D8EC1080 68000004
	ds_read_b64 v[108:109], v4 offset:4352                     // 00000000A874: D8EC1100 6C000004
	s_waitcnt lgkmcnt(0)                                       // 00000000A87C: BF8CC07F
	v_and_b32_e32 v41, 0xffff, v104                            // 00000000A880: 2652D0FF 0000FFFF
	v_lshrrev_b32_e32 v42, 16, v104                            // 00000000A888: 2054D090
	v_and_b32_e32 v43, 0xffff, v105                            // 00000000A88C: 2656D2FF 0000FFFF
	v_lshrrev_b32_e32 v44, 16, v105                            // 00000000A894: 2058D290
	v_cvt_f32_f16_e32 v104, v41                                // 00000000A898: 7ED01729
	v_cvt_f32_f16_e32 v105, v42                                // 00000000A89C: 7ED2172A
	v_cvt_f32_f16_e32 v106, v43                                // 00000000A8A0: 7ED4172B
	v_cvt_f32_f16_e32 v107, v44                                // 00000000A8A4: 7ED6172C
	v_and_b32_e32 v41, 0xffff, v108                            // 00000000A8A8: 2652D8FF 0000FFFF
	v_lshrrev_b32_e32 v42, 16, v108                            // 00000000A8B0: 2054D890
	v_and_b32_e32 v43, 0xffff, v109                            // 00000000A8B4: 2656DAFF 0000FFFF
	v_lshrrev_b32_e32 v44, 16, v109                            // 00000000A8BC: 2058DA90
	v_cvt_f32_f16_e32 v108, v41                                // 00000000A8C0: 7ED81729
	v_cvt_f32_f16_e32 v109, v42                                // 00000000A8C4: 7EDA172A
	v_cvt_f32_f16_e32 v110, v43                                // 00000000A8C8: 7EDC172B
	v_cvt_f32_f16_e32 v111, v44                                // 00000000A8CC: 7EDE172C
	v_mov_b32_e32 v62, 0x358637bd                              // 00000000A8D0: 7E7C02FF 358637BD
	v_max3_f32 v62, |v104|, |v105|, v62                        // 00000000A8D8: D1D3033E 04FAD368
	v_max3_f32 v62, |v106|, |v107|, v62                        // 00000000A8E0: D1D3033E 04FAD76A
	v_max3_f32 v62, |v108|, |v109|, v62                        // 00000000A8E8: D1D3033E 04FADB6C
	v_max3_f32 v62, |v110|, |v111|, v62                        // 00000000A8F0: D1D3033E 04FADF6E
	ds_write_b32 v11, v62 offset:16896                         // 00000000A8F8: D81A4200 00003E0B
	s_waitcnt lgkmcnt(0)                                       // 00000000A900: BF8CC07F
	s_barrier                                                  // 00000000A904: BF8A0000
	ds_read_b32 v80, v10 offset:16896                          // 00000000A908: D86C4200 5000000A
	ds_read_b32 v81, v10 offset:16960                          // 00000000A910: D86C4240 5100000A
	ds_read_b32 v82, v10 offset:17024                          // 00000000A918: D86C4280 5200000A
	ds_read_b32 v83, v10 offset:17088                          // 00000000A920: D86C42C0 5300000A
	ds_read_b32 v84, v10 offset:17152                          // 00000000A928: D86C4300 5400000A
	ds_read_b32 v85, v10 offset:17216                          // 00000000A930: D86C4340 5500000A
	ds_read_b32 v86, v10 offset:17280                          // 00000000A938: D86C4380 5600000A
	ds_read_b32 v87, v10 offset:17344                          // 00000000A940: D86C43C0 5700000A
	ds_read_b32 v88, v10 offset:17408                          // 00000000A948: D86C4400 5800000A
	ds_read_b32 v89, v10 offset:17472                          // 00000000A950: D86C4440 5900000A
	ds_read_b32 v90, v10 offset:17536                          // 00000000A958: D86C4480 5A00000A
	ds_read_b32 v91, v10 offset:17600                          // 00000000A960: D86C44C0 5B00000A
	ds_read_b32 v92, v10 offset:17664                          // 00000000A968: D86C4500 5C00000A
	ds_read_b32 v93, v10 offset:17728                          // 00000000A970: D86C4540 5D00000A
	ds_read_b32 v94, v10 offset:17792                          // 00000000A978: D86C4580 5E00000A
	ds_read_b32 v95, v10 offset:17856                          // 00000000A980: D86C45C0 5F00000A
	s_waitcnt lgkmcnt(0)                                       // 00000000A988: BF8CC07F
	v_max3_f32 v62, |v80|, |v81|, v62                          // 00000000A98C: D1D3033E 04FAA350
	v_max3_f32 v62, |v82|, |v83|, v62                          // 00000000A994: D1D3033E 04FAA752
	v_max3_f32 v62, |v84|, |v85|, v62                          // 00000000A99C: D1D3033E 04FAAB54
	v_max3_f32 v62, |v86|, |v87|, v62                          // 00000000A9A4: D1D3033E 04FAAF56
	v_max3_f32 v62, |v88|, |v89|, v62                          // 00000000A9AC: D1D3033E 04FAB358
	v_max3_f32 v62, |v90|, |v91|, v62                          // 00000000A9B4: D1D3033E 04FAB75A
	v_max3_f32 v62, |v92|, |v93|, v62                          // 00000000A9BC: D1D3033E 04FABB5C
	v_max3_f32 v62, |v94|, |v95|, v62                          // 00000000A9C4: D1D3033E 04FABF5E
	v_rcp_f32_e32 v62, v62                                     // 00000000A9CC: 7E7C453E
	s_nop 1                                                    // 00000000A9D0: BF800001
	v_mul_f32_e32 v62, 0x42fe0000, v62                         // 00000000A9D4: 0A7C7CFF 42FE0000
	v_mul_f32_e32 v104, v62, v104                              // 00000000A9DC: 0AD0D13E
	v_mul_f32_e32 v105, v62, v105                              // 00000000A9E0: 0AD2D33E
	v_mul_f32_e32 v106, v62, v106                              // 00000000A9E4: 0AD4D53E
	v_mul_f32_e32 v107, v62, v107                              // 00000000A9E8: 0AD6D73E
	v_mul_f32_e32 v108, v62, v108                              // 00000000A9EC: 0AD8D93E
	v_mul_f32_e32 v109, v62, v109                              // 00000000A9F0: 0ADADB3E
	v_mul_f32_e32 v110, v62, v110                              // 00000000A9F4: 0ADCDD3E
	v_mul_f32_e32 v111, v62, v111                              // 00000000A9F8: 0ADEDF3E
	v_cvt_i32_f32_e32 v104, v104                               // 00000000A9FC: 7ED01168
	v_cvt_i32_f32_e32 v105, v105                               // 00000000AA00: 7ED21169
	v_cvt_i32_f32_e32 v106, v106                               // 00000000AA04: 7ED4116A
	v_cvt_i32_f32_e32 v107, v107                               // 00000000AA08: 7ED6116B
	v_cvt_i32_f32_e32 v108, v108                               // 00000000AA0C: 7ED8116C
	v_cvt_i32_f32_e32 v109, v109                               // 00000000AA10: 7EDA116D
	v_cvt_i32_f32_e32 v110, v110                               // 00000000AA14: 7EDC116E
	v_cvt_i32_f32_e32 v111, v111                               // 00000000AA18: 7EDE116F
	v_rcp_f32_e32 v55, v62                                     // 00000000AA1C: 7E6E453E
	v_perm_b32 v104, v105, v104, s53                           // 00000000AA20: D1ED0068 00D6D169
	v_perm_b32 v104, v106, v104, s54                           // 00000000AA28: D1ED0068 00DAD16A
	v_perm_b32 v104, v107, v104, s55                           // 00000000AA30: D1ED0068 00DED16B
	v_perm_b32 v105, v109, v108, s53                           // 00000000AA38: D1ED0069 00D6D96D
	v_perm_b32 v105, v110, v105, s54                           // 00000000AA40: D1ED0069 00DAD36E
	v_perm_b32 v105, v111, v105, s55                           // 00000000AA48: D1ED0069 00DED36F
	ds_write_b32 v13, v104 offset:25088                        // 00000000AA50: D81A6200 0000680D
	ds_write_b32 v13, v105 offset:26112                        // 00000000AA58: D81A6600 0000690D
	s_waitcnt lgkmcnt(0)                                       // 00000000AA60: BF8CC07F
	s_barrier                                                  // 00000000AA64: BF8A0000
	ds_read_b64 v[104:105], v12 offset:25088                   // 00000000AA68: D8EC6200 6800000C
	ds_read_b64 v[106:107], v12 offset:25216                   // 00000000AA70: D8EC6280 6A00000C
	ds_read_b64 v[108:109], v12 offset:26112                   // 00000000AA78: D8EC6600 6C00000C
	ds_read_b64 v[110:111], v12 offset:26240                   // 00000000AA80: D8EC6680 6E00000C
	v_mov_b32_e32 v232, 0                                      // 00000000AA88: 7FD00280
	v_mov_b32_e32 v233, 0                                      // 00000000AA8C: 7FD20280
	v_mov_b32_e32 v234, 0                                      // 00000000AA90: 7FD40280
	v_mov_b32_e32 v235, 0                                      // 00000000AA94: 7FD60280
	v_mov_b32_e32 v236, 0                                      // 00000000AA98: 7FD80280
	v_mov_b32_e32 v237, 0                                      // 00000000AA9C: 7FDA0280
	v_mov_b32_e32 v238, 0                                      // 00000000AAA0: 7FDC0280
	v_mov_b32_e32 v239, 0                                      // 00000000AAA4: 7FDE0280
	v_mov_b32_e32 v200, 0                                      // 00000000AAA8: 7F900280
	v_mov_b32_e32 v201, 0                                      // 00000000AAAC: 7F920280
	v_mov_b32_e32 v202, 0                                      // 00000000AAB0: 7F940280
	v_mov_b32_e32 v203, 0                                      // 00000000AAB4: 7F960280
	v_mov_b32_e32 v204, 0                                      // 00000000AAB8: 7F980280
	v_mov_b32_e32 v205, 0                                      // 00000000AABC: 7F9A0280
	v_mov_b32_e32 v206, 0                                      // 00000000AAC0: 7F9C0280
	v_mov_b32_e32 v207, 0                                      // 00000000AAC4: 7F9E0280
	s_waitcnt vmcnt(8) lgkmcnt(0)                              // 00000000AAC8: BF8C0078
	s_barrier                                                  // 00000000AACC: BF8A0000
	s_cmp_lt_u32 s73, 16                                       // 00000000AAD0: BF0A9049
	s_cbranch_scc1 label_34B5                                  // 00000000AAD4: BF85127F
	s_cmp_lt_i32 s7, 2                                         // 00000000AAD8: BF048207
	s_cbranch_scc0 label_2B78                                  // 00000000AADC: BF840940

000000000000aae0 <label_2238>:
	s_waitcnt vmcnt(8) lgkmcnt(0)                              // 00000000AAE0: BF8C0078
	v_mul_u32_u24_dpp v41, v20, v68 row_newbcast:0 row_mask:0xf bank_mask:0xf// 00000000AAE4: 105288FA FF015014
	v_mul_u32_u24_dpp v42, v20, v68 row_newbcast:4 row_mask:0xf bank_mask:0xf// 00000000AAEC: 105488FA FF015414
	v_mul_u32_u24_dpp v43, v20, v68 row_newbcast:8 row_mask:0xf bank_mask:0xf// 00000000AAF4: 105688FA FF015814
	v_mul_u32_u24_dpp v44, v20, v68 row_newbcast:12 row_mask:0xf bank_mask:0xf// 00000000AAFC: 105888FA FF015C14
	v_add_u32_e32 v29, v41, v6                                 // 00000000AB04: 683A0D29
	v_add_u32_e32 v30, v42, v6                                 // 00000000AB08: 683C0D2A
	v_add_u32_e32 v31, v43, v6                                 // 00000000AB0C: 683E0D2B
	v_add_u32_e32 v32, v44, v6                                 // 00000000AB10: 68400D2C
	v_mul_u32_u24_dpp v41, v20, v78 quad_perm:[0,0,0,0] row_mask:0xf bank_mask:0xf// 00000000AB14: 10529CFA FF000014
	v_add_u32_e32 v3, v41, v74                                 // 00000000AB1C: 68069529
	v_mul_u32_u24_dpp v41, v20, v78 quad_perm:[0,0,0,0] row_mask:0xf bank_mask:0xf// 00000000AB20: 10529CFA FF000014
	v_add_u32_e32 v71, v41, v75                                // 00000000AB28: 688E9729
	v_mfma_i32_16x16x32_i8 v[128:131], a[0:1], v[96:97], 0     // 00000000AB2C: D3D70080 0A02C100
	v_mfma_i32_16x16x32_i8 v[128:131], a[2:3], v[98:99], v[128:131]// 00000000AB34: D3D70080 0E02C502
	buffer_load_dwordx4 a[32:35], v29, s[16:19], 0 offen       // 00000000AB3C: E05C1000 8084201D
	v_mfma_i32_16x16x32_i8 v[128:131], a[4:5], v[100:101], v[128:131]// 00000000AB44: D3D70080 0E02C904
	v_mfma_i32_16x16x32_i8 v[128:131], a[6:7], v[102:103], v[128:131]// 00000000AB4C: D3D70080 0E02CD06
	buffer_load_dword v19, v1, s[24:27], 0 offen               // 00000000AB54: E0501000 80061301
	v_mfma_i32_16x16x32_i8 v[132:135], a[8:9], v[96:97], 0     // 00000000AB5C: D3D70084 0A02C108
	v_mfma_i32_16x16x32_i8 v[132:135], a[10:11], v[98:99], v[132:135]// 00000000AB64: D3D70084 0E12C50A
	buffer_load_dwordx4 a[36:39], v29, s[16:19], 0 offen offset:1024// 00000000AB6C: E05C1400 8084241D
	v_mfma_i32_16x16x32_i8 v[132:135], a[12:13], v[100:101], v[132:135]// 00000000AB74: D3D70084 0E12C90C
	v_mfma_i32_16x16x32_i8 v[132:135], a[14:15], v[102:103], v[132:135]// 00000000AB7C: D3D70084 0E12CD0E
	v_mfma_i32_16x16x32_i8 v[136:139], a[16:17], v[96:97], 0   // 00000000AB84: D3D70088 0A02C110
	v_mfma_i32_16x16x32_i8 v[136:139], a[18:19], v[98:99], v[136:139]// 00000000AB8C: D3D70088 0E22C512
	buffer_load_dwordx4 a[40:43], v30, s[16:19], 0 offen       // 00000000AB94: E05C1000 8084281E
	v_mfma_i32_16x16x32_i8 v[136:139], a[20:21], v[100:101], v[136:139]// 00000000AB9C: D3D70088 0E22C914
	v_mfma_i32_16x16x32_i8 v[136:139], a[22:23], v[102:103], v[136:139]// 00000000ABA4: D3D70088 0E22CD16
	v_mfma_i32_16x16x32_i8 v[140:143], a[24:25], v[96:97], 0   // 00000000ABAC: D3D7008C 0A02C118
	v_mfma_i32_16x16x32_i8 v[140:143], a[26:27], v[98:99], v[140:143]// 00000000ABB4: D3D7008C 0E32C51A
	buffer_load_dwordx4 a[44:47], v30, s[16:19], 0 offen offset:1024// 00000000ABBC: E05C1400 80842C1E
	v_mfma_i32_16x16x32_i8 v[140:143], a[28:29], v[100:101], v[140:143]// 00000000ABC4: D3D7008C 0E32C91C
	v_mfma_i32_16x16x32_i8 v[140:143], a[30:31], v[102:103], v[140:143]// 00000000ABCC: D3D7008C 0E32CD1E
	v_mfma_i32_16x16x32_i8 v[144:147], a[0:1], v[104:105], 0   // 00000000ABD4: D3D70090 0A02D100
	v_mfma_i32_16x16x32_i8 v[144:147], a[2:3], v[106:107], v[144:147]// 00000000ABDC: D3D70090 0E42D502
	v_mfma_i32_16x16x32_i8 v[144:147], a[4:5], v[108:109], v[144:147]// 00000000ABE4: D3D70090 0E42D904
	v_mfma_i32_16x16x32_i8 v[144:147], a[6:7], v[110:111], v[144:147]// 00000000ABEC: D3D70090 0E42DD06
	v_mfma_i32_16x16x32_i8 v[148:151], a[8:9], v[104:105], 0   // 00000000ABF4: D3D70094 0A02D108
	v_mfma_i32_16x16x32_i8 v[148:151], a[10:11], v[106:107], v[148:151]// 00000000ABFC: D3D70094 0E52D50A
	v_mfma_i32_16x16x32_i8 v[148:151], a[12:13], v[108:109], v[148:151]// 00000000AC04: D3D70094 0E52D90C
	v_mfma_i32_16x16x32_i8 v[148:151], a[14:15], v[110:111], v[148:151]// 00000000AC0C: D3D70094 0E52DD0E
	v_mfma_i32_16x16x32_i8 v[152:155], a[16:17], v[104:105], 0 // 00000000AC14: D3D70098 0A02D110
	v_mfma_i32_16x16x32_i8 v[152:155], a[18:19], v[106:107], v[152:155]// 00000000AC1C: D3D70098 0E62D512
	v_mfma_i32_16x16x32_i8 v[152:155], a[20:21], v[108:109], v[152:155]// 00000000AC24: D3D70098 0E62D914
	v_mfma_i32_16x16x32_i8 v[152:155], a[22:23], v[110:111], v[152:155]// 00000000AC2C: D3D70098 0E62DD16
	v_mfma_i32_16x16x32_i8 v[156:159], a[24:25], v[104:105], 0 // 00000000AC34: D3D7009C 0A02D118
	v_mfma_i32_16x16x32_i8 v[156:159], a[26:27], v[106:107], v[156:159]// 00000000AC3C: D3D7009C 0E72D51A
	v_mfma_i32_16x16x32_i8 v[156:159], a[28:29], v[108:109], v[156:159]// 00000000AC44: D3D7009C 0E72D91C
	v_mfma_i32_16x16x32_i8 v[156:159], a[30:31], v[110:111], v[156:159]// 00000000AC4C: D3D7009C 0E72DD1E
	buffer_load_dword v53, v3, s[32:35], 0 offen               // 00000000AC54: E0501000 80083503
	v_mov_b32_dpp v41, v52 row_shr:4 row_mask:0xf bank_mask:0xf// 00000000AC5C: 7E5202FA FF011434
	v_mov_b32_dpp v42, v52 row_shl:4 row_mask:0xf bank_mask:0xf// 00000000AC64: 7E5402FA FF010434
	v_cndmask_b32_e64 v248, v52, v41, s[44:45]                 // 00000000AC6C: D10000F8 00B25334
	v_cndmask_b32_e64 v249, v42, v52, s[44:45]                 // 00000000AC74: D10000F9 00B2692A
	v_mov_b32_dpp v41, v248 row_shr:8 row_mask:0xf bank_mask:0xf// 00000000AC7C: 7E5202FA FF0118F8
	v_mov_b32_dpp v42, v248 row_shl:8 row_mask:0xf bank_mask:0xf// 00000000AC84: 7E5402FA FF0108F8
	v_mov_b32_dpp v43, v249 row_shr:8 row_mask:0xf bank_mask:0xf// 00000000AC8C: 7E5602FA FF0118F9
	v_mov_b32_dpp v44, v249 row_shl:8 row_mask:0xf bank_mask:0xf// 00000000AC94: 7E5802FA FF0108F9
	v_mov_b32_e32 v45, v248                                    // 00000000AC9C: 7E5A03F8
	v_mov_b32_e32 v46, v249                                    // 00000000ACA0: 7E5C03F9
	v_cndmask_b32_e64 v248, v45, v41, s[42:43]                 // 00000000ACA4: D10000F8 00AA532D
	v_cndmask_b32_e64 v250, v45, v42, s[78:79]                 // 00000000ACAC: D10000FA 013A552D
	v_cndmask_b32_e64 v249, v46, v43, s[42:43]                 // 00000000ACB4: D10000F9 00AA572E
	v_cndmask_b32_e64 v251, v46, v44, s[78:79]                 // 00000000ACBC: D10000FB 013A592E
	v_mov_b32_dpp v41, v72 row_shr:4 row_mask:0xf bank_mask:0xf// 00000000ACC4: 7E5202FA FF011448
	v_mov_b32_dpp v42, v72 row_shl:4 row_mask:0xf bank_mask:0xf// 00000000ACCC: 7E5402FA FF010448
	v_cndmask_b32_e64 v252, v72, v41, s[44:45]                 // 00000000ACD4: D10000FC 00B25348
	v_cndmask_b32_e64 v253, v42, v72, s[44:45]                 // 00000000ACDC: D10000FD 00B2912A
	v_mov_b32_dpp v41, v252 row_shr:8 row_mask:0xf bank_mask:0xf// 00000000ACE4: 7E5202FA FF0118FC
	v_mov_b32_dpp v42, v252 row_shl:8 row_mask:0xf bank_mask:0xf// 00000000ACEC: 7E5402FA FF0108FC
	v_mov_b32_dpp v43, v253 row_shr:8 row_mask:0xf bank_mask:0xf// 00000000ACF4: 7E5602FA FF0118FD
	v_mov_b32_dpp v44, v253 row_shl:8 row_mask:0xf bank_mask:0xf// 00000000ACFC: 7E5802FA FF0108FD
	v_mov_b32_e32 v45, v252                                    // 00000000AD04: 7E5A03FC
	v_mov_b32_e32 v46, v253                                    // 00000000AD08: 7E5C03FD
	v_cndmask_b32_e64 v252, v45, v41, s[42:43]                 // 00000000AD0C: D10000FC 00AA532D
	v_cndmask_b32_e64 v254, v45, v42, s[78:79]                 // 00000000AD14: D10000FE 013A552D
	v_cndmask_b32_e64 v253, v46, v43, s[42:43]                 // 00000000AD1C: D10000FD 00AA572E
	v_cndmask_b32_e64 v255, v46, v44, s[78:79]                 // 00000000AD24: D10000FF 013A592E
	buffer_load_dword v73, v71, s[36:39], 0 offen              // 00000000AD2C: E0501000 80094947
	v_cvt_f32_i32_e32 v128, v128                               // 00000000AD34: 7F000B80
	v_cvt_f32_i32_e32 v129, v129                               // 00000000AD38: 7F020B81
	v_cvt_f32_i32_e32 v130, v130                               // 00000000AD3C: 7F040B82
	v_cvt_f32_i32_e32 v131, v131                               // 00000000AD40: 7F060B83
	v_cvt_f32_i32_e32 v132, v132                               // 00000000AD44: 7F080B84
	v_cvt_f32_i32_e32 v133, v133                               // 00000000AD48: 7F0A0B85
	v_cvt_f32_i32_e32 v134, v134                               // 00000000AD4C: 7F0C0B86
	v_cvt_f32_i32_e32 v135, v135                               // 00000000AD50: 7F0E0B87
	v_cvt_f32_i32_e32 v136, v136                               // 00000000AD54: 7F100B88
	v_cvt_f32_i32_e32 v137, v137                               // 00000000AD58: 7F120B89
	v_cvt_f32_i32_e32 v138, v138                               // 00000000AD5C: 7F140B8A
	v_cvt_f32_i32_e32 v139, v139                               // 00000000AD60: 7F160B8B
	v_cvt_f32_i32_e32 v140, v140                               // 00000000AD64: 7F180B8C
	v_cvt_f32_i32_e32 v141, v141                               // 00000000AD68: 7F1A0B8D
	v_cvt_f32_i32_e32 v142, v142                               // 00000000AD6C: 7F1C0B8E
	v_cvt_f32_i32_e32 v143, v143                               // 00000000AD70: 7F1E0B8F
	v_mul_f32_e32 v128, v54, v128                              // 00000000AD74: 0B010136
	v_mul_f32_e32 v129, v54, v129                              // 00000000AD78: 0B030336
	v_mul_f32_e32 v130, v54, v130                              // 00000000AD7C: 0B050536
	v_mul_f32_e32 v131, v54, v131                              // 00000000AD80: 0B070736
	v_mul_f32_e32 v132, v54, v132                              // 00000000AD84: 0B090936
	v_mul_f32_e32 v133, v54, v133                              // 00000000AD88: 0B0B0B36
	v_mul_f32_e32 v134, v54, v134                              // 00000000AD8C: 0B0D0D36
	v_mul_f32_e32 v135, v54, v135                              // 00000000AD90: 0B0F0F36
	v_mul_f32_e32 v136, v54, v136                              // 00000000AD94: 0B111136
	v_mul_f32_e32 v137, v54, v137                              // 00000000AD98: 0B131336
	v_mul_f32_e32 v138, v54, v138                              // 00000000AD9C: 0B151536
	v_mul_f32_e32 v139, v54, v139                              // 00000000ADA0: 0B171736
	v_mul_f32_e32 v140, v54, v140                              // 00000000ADA4: 0B191936
	v_mul_f32_e32 v141, v54, v141                              // 00000000ADA8: 0B1B1B36
	v_mul_f32_e32 v142, v54, v142                              // 00000000ADAC: 0B1D1D36
	v_mul_f32_e32 v143, v54, v143                              // 00000000ADB0: 0B1F1F36
	buffer_load_dwordx4 a[48:51], v31, s[16:19], 0 offen       // 00000000ADB4: E05C1000 8084301F
	v_mul_f32_dpp v128, v248, v128 quad_perm:[0,0,0,0] row_mask:0xf bank_mask:0xf// 00000000ADBC: 0B0100FA FF0000F8
	v_mul_f32_dpp v129, v248, v129 quad_perm:[1,1,1,1] row_mask:0xf bank_mask:0xf// 00000000ADC4: 0B0302FA FF0055F8
	v_mul_f32_dpp v130, v248, v130 quad_perm:[2,2,2,2] row_mask:0xf bank_mask:0xf// 00000000ADCC: 0B0504FA FF00AAF8
	v_mul_f32_dpp v131, v248, v131 quad_perm:[3,3,3,3] row_mask:0xf bank_mask:0xf// 00000000ADD4: 0B0706FA FF00FFF8
	v_mul_f32_dpp v132, v249, v132 quad_perm:[0,0,0,0] row_mask:0xf bank_mask:0xf// 00000000ADDC: 0B0908FA FF0000F9
	v_mul_f32_dpp v133, v249, v133 quad_perm:[1,1,1,1] row_mask:0xf bank_mask:0xf// 00000000ADE4: 0B0B0AFA FF0055F9
	v_mul_f32_dpp v134, v249, v134 quad_perm:[2,2,2,2] row_mask:0xf bank_mask:0xf// 00000000ADEC: 0B0D0CFA FF00AAF9
	v_mul_f32_dpp v135, v249, v135 quad_perm:[3,3,3,3] row_mask:0xf bank_mask:0xf// 00000000ADF4: 0B0F0EFA FF00FFF9
	v_mul_f32_dpp v136, v250, v136 quad_perm:[0,0,0,0] row_mask:0xf bank_mask:0xf// 00000000ADFC: 0B1110FA FF0000FA
	v_mul_f32_dpp v137, v250, v137 quad_perm:[1,1,1,1] row_mask:0xf bank_mask:0xf// 00000000AE04: 0B1312FA FF0055FA
	v_mul_f32_dpp v138, v250, v138 quad_perm:[2,2,2,2] row_mask:0xf bank_mask:0xf// 00000000AE0C: 0B1514FA FF00AAFA
	v_mul_f32_dpp v139, v250, v139 quad_perm:[3,3,3,3] row_mask:0xf bank_mask:0xf// 00000000AE14: 0B1716FA FF00FFFA
	v_mul_f32_dpp v140, v251, v140 quad_perm:[0,0,0,0] row_mask:0xf bank_mask:0xf// 00000000AE1C: 0B1918FA FF0000FB
	v_mul_f32_dpp v141, v251, v141 quad_perm:[1,1,1,1] row_mask:0xf bank_mask:0xf// 00000000AE24: 0B1B1AFA FF0055FB
	v_mul_f32_dpp v142, v251, v142 quad_perm:[2,2,2,2] row_mask:0xf bank_mask:0xf// 00000000AE2C: 0B1D1CFA FF00AAFB
	v_mul_f32_dpp v143, v251, v143 quad_perm:[3,3,3,3] row_mask:0xf bank_mask:0xf// 00000000AE34: 0B1F1EFA FF00FFFB
	buffer_load_dwordx4 a[52:55], v31, s[16:19], 0 offen offset:1024// 00000000AE3C: E05C1400 8084341F
	v_mov_b32_e32 v62, v128                                    // 00000000AE44: 7E7C0380
	v_max3_f32 v62, v128, v129, v62                            // 00000000AE48: D1D3003E 04FB0380
	v_max3_f32 v62, v130, v131, v62                            // 00000000AE50: D1D3003E 04FB0782
	v_max3_f32 v62, v132, v133, v62                            // 00000000AE58: D1D3003E 04FB0B84
	v_max3_f32 v62, v134, v135, v62                            // 00000000AE60: D1D3003E 04FB0F86
	v_max3_f32 v62, v136, v137, v62                            // 00000000AE68: D1D3003E 04FB1388
	v_max3_f32 v62, v138, v139, v62                            // 00000000AE70: D1D3003E 04FB178A
	v_max3_f32 v62, v140, v141, v62                            // 00000000AE78: D1D3003E 04FB1B8C
	v_max3_f32 v62, v142, v143, v62                            // 00000000AE80: D1D3003E 04FB1F8E
	ds_write_b32 v11, v62 offset:16896                         // 00000000AE88: D81A4200 00003E0B
	buffer_load_dwordx4 a[56:59], v32, s[16:19], 0 offen       // 00000000AE90: E05C1000 80843820
	v_mul_u32_u24_dpp v41, v20, v68 row_newbcast:1 row_mask:0xf bank_mask:0xf// 00000000AE98: 105288FA FF015114
	v_mul_u32_u24_dpp v42, v20, v68 row_newbcast:5 row_mask:0xf bank_mask:0xf// 00000000AEA0: 105488FA FF015514
	v_mul_u32_u24_dpp v43, v20, v68 row_newbcast:9 row_mask:0xf bank_mask:0xf// 00000000AEA8: 105688FA FF015914
	v_mul_u32_u24_dpp v44, v20, v68 row_newbcast:13 row_mask:0xf bank_mask:0xf// 00000000AEB0: 105888FA FF015D14
	v_add_u32_e32 v37, v41, v7                                 // 00000000AEB8: 684A0F29
	v_add_u32_e32 v38, v42, v7                                 // 00000000AEBC: 684C0F2A
	v_add_u32_e32 v39, v43, v7                                 // 00000000AEC0: 684E0F2B
	v_add_u32_e32 v40, v44, v7                                 // 00000000AEC4: 68500F2C
	v_mul_f32_e32 v224, v63, v224                              // 00000000AEC8: 0BC1C13F
	v_mul_f32_e32 v225, v63, v225                              // 00000000AECC: 0BC3C33F
	v_mul_f32_e32 v226, v63, v226                              // 00000000AED0: 0BC5C53F
	v_mul_f32_e32 v227, v63, v227                              // 00000000AED4: 0BC7C73F
	v_mul_f32_e32 v228, v63, v228                              // 00000000AED8: 0BC9C93F
	v_mul_f32_e32 v229, v63, v229                              // 00000000AEDC: 0BCBCB3F
	v_mul_f32_e32 v230, v63, v230                              // 00000000AEE0: 0BCDCD3F
	v_mul_f32_e32 v231, v63, v231                              // 00000000AEE4: 0BCFCF3F
	s_waitcnt lgkmcnt(0)                                       // 00000000AEE8: BF8CC07F
	s_barrier                                                  // 00000000AEEC: BF8A0000
	ds_read_b32 v80, v10 offset:16896                          // 00000000AEF0: D86C4200 5000000A
	ds_read_b32 v81, v10 offset:16960                          // 00000000AEF8: D86C4240 5100000A
	ds_read_b32 v82, v10 offset:17024                          // 00000000AF00: D86C4280 5200000A
	ds_read_b32 v83, v10 offset:17088                          // 00000000AF08: D86C42C0 5300000A
	ds_read_b32 v84, v10 offset:17152                          // 00000000AF10: D86C4300 5400000A
	ds_read_b32 v85, v10 offset:17216                          // 00000000AF18: D86C4340 5500000A
	ds_read_b32 v86, v10 offset:17280                          // 00000000AF20: D86C4380 5600000A
	ds_read_b32 v87, v10 offset:17344                          // 00000000AF28: D86C43C0 5700000A
	ds_read_b32 v88, v10 offset:17408                          // 00000000AF30: D86C4400 5800000A
	ds_read_b32 v89, v10 offset:17472                          // 00000000AF38: D86C4440 5900000A
	ds_read_b32 v90, v10 offset:17536                          // 00000000AF40: D86C4480 5A00000A
	ds_read_b32 v91, v10 offset:17600                          // 00000000AF48: D86C44C0 5B00000A
	ds_read_b32 v92, v10 offset:17664                          // 00000000AF50: D86C4500 5C00000A
	ds_read_b32 v93, v10 offset:17728                          // 00000000AF58: D86C4540 5D00000A
	ds_read_b32 v94, v10 offset:17792                          // 00000000AF60: D86C4580 5E00000A
	ds_read_b32 v95, v10 offset:17856                          // 00000000AF68: D86C45C0 5F00000A
	buffer_load_dwordx4 a[60:63], v32, s[16:19], 0 offen offset:1024// 00000000AF70: E05C1400 80843C20
	v_cvt_f32_i32_e32 v192, v192                               // 00000000AF78: 7F800BC0
	v_cvt_f32_i32_e32 v193, v193                               // 00000000AF7C: 7F820BC1
	v_cvt_f32_i32_e32 v194, v194                               // 00000000AF80: 7F840BC2
	v_cvt_f32_i32_e32 v195, v195                               // 00000000AF84: 7F860BC3
	v_cvt_f32_i32_e32 v196, v196                               // 00000000AF88: 7F880BC4
	v_cvt_f32_i32_e32 v197, v197                               // 00000000AF8C: 7F8A0BC5
	v_cvt_f32_i32_e32 v198, v198                               // 00000000AF90: 7F8C0BC6
	v_cvt_f32_i32_e32 v199, v199                               // 00000000AF94: 7F8E0BC7
	v_mul_f32_e32 v192, v58, v192                              // 00000000AF98: 0B81813A
	v_mul_f32_e32 v193, v58, v193                              // 00000000AF9C: 0B83833A
	v_mul_f32_e32 v194, v58, v194                              // 00000000AFA0: 0B85853A
	v_mul_f32_e32 v195, v58, v195                              // 00000000AFA4: 0B87873A
	v_mul_f32_e32 v196, v58, v196                              // 00000000AFA8: 0B89893A
	v_mul_f32_e32 v197, v58, v197                              // 00000000AFAC: 0B8B8B3A
	v_mul_f32_e32 v198, v58, v198                              // 00000000AFB0: 0B8D8D3A
	v_mul_f32_e32 v199, v58, v199                              // 00000000AFB4: 0B8F8F3A
	s_waitcnt lgkmcnt(0)                                       // 00000000AFB8: BF8CC07F
	v_max3_f32 v62, v80, v81, v62                              // 00000000AFBC: D1D3003E 04FAA350
	v_max3_f32 v62, v82, v83, v62                              // 00000000AFC4: D1D3003E 04FAA752
	v_max3_f32 v62, v84, v85, v62                              // 00000000AFCC: D1D3003E 04FAAB54
	v_max3_f32 v62, v86, v87, v62                              // 00000000AFD4: D1D3003E 04FAAF56
	v_max3_f32 v62, v88, v89, v62                              // 00000000AFDC: D1D3003E 04FAB358
	v_max3_f32 v62, v90, v91, v62                              // 00000000AFE4: D1D3003E 04FAB75A
	v_max3_f32 v62, v92, v93, v62                              // 00000000AFEC: D1D3003E 04FABB5C
	v_max3_f32 v62, v94, v95, v62                              // 00000000AFF4: D1D3003E 04FABF5E
	buffer_load_dwordx4 a[96:99], v37, s[20:23], 0 offen       // 00000000AFFC: E05C1000 80856025
	v_mov_b32_e32 v41, 0xff800000                              // 00000000B004: 7E5202FF FF800000
	v_cmp_eq_u32_e64 s[40:41], v41, v14                        // 00000000B00C: D0CA0028 00021D29
	s_nop 1                                                    // 00000000B014: BF800001
	v_max_f32_e32 v18, v62, v14                                // 00000000B018: 16241D3E
	v_mul_f32_e32 v67, s64, v18                                // 00000000B01C: 0A862440
	v_fma_f32 v128, v128, s64, -v67                            // 00000000B020: D1CB0080 850C8180
	v_fma_f32 v129, v129, s64, -v67                            // 00000000B028: D1CB0081 850C8181
	v_fma_f32 v130, v130, s64, -v67                            // 00000000B030: D1CB0082 850C8182
	v_fma_f32 v131, v131, s64, -v67                            // 00000000B038: D1CB0083 850C8183
	v_fma_f32 v132, v132, s64, -v67                            // 00000000B040: D1CB0084 850C8184
	v_fma_f32 v133, v133, s64, -v67                            // 00000000B048: D1CB0085 850C8185
	v_fma_f32 v134, v134, s64, -v67                            // 00000000B050: D1CB0086 850C8186
	v_fma_f32 v135, v135, s64, -v67                            // 00000000B058: D1CB0087 850C8187
	v_fma_f32 v136, v136, s64, -v67                            // 00000000B060: D1CB0088 850C8188
	v_fma_f32 v137, v137, s64, -v67                            // 00000000B068: D1CB0089 850C8189
	v_fma_f32 v138, v138, s64, -v67                            // 00000000B070: D1CB008A 850C818A
	v_fma_f32 v139, v139, s64, -v67                            // 00000000B078: D1CB008B 850C818B
	v_fma_f32 v140, v140, s64, -v67                            // 00000000B080: D1CB008C 850C818C
	v_fma_f32 v141, v141, s64, -v67                            // 00000000B088: D1CB008D 850C818D
	v_fma_f32 v142, v142, s64, -v67                            // 00000000B090: D1CB008E 850C818E
	v_fma_f32 v143, v143, s64, -v67                            // 00000000B098: D1CB008F 850C818F
	buffer_load_dwordx4 a[100:103], v38, s[20:23], 0 offen     // 00000000B0A0: E05C1000 80856426
	v_exp_f32_e32 v128, v128                                   // 00000000B0A8: 7F004180
	v_exp_f32_e32 v129, v129                                   // 00000000B0AC: 7F024181
	v_exp_f32_e32 v130, v130                                   // 00000000B0B0: 7F044182
	v_exp_f32_e32 v131, v131                                   // 00000000B0B4: 7F064183
	v_exp_f32_e32 v132, v132                                   // 00000000B0B8: 7F084184
	v_exp_f32_e32 v133, v133                                   // 00000000B0BC: 7F0A4185
	v_exp_f32_e32 v134, v134                                   // 00000000B0C0: 7F0C4186
	v_exp_f32_e32 v135, v135                                   // 00000000B0C4: 7F0E4187
	v_exp_f32_e32 v136, v136                                   // 00000000B0C8: 7F104188
	v_exp_f32_e32 v137, v137                                   // 00000000B0CC: 7F124189
	v_exp_f32_e32 v138, v138                                   // 00000000B0D0: 7F14418A
	v_exp_f32_e32 v139, v139                                   // 00000000B0D4: 7F16418B
	v_exp_f32_e32 v140, v140                                   // 00000000B0D8: 7F18418C
	v_exp_f32_e32 v141, v141                                   // 00000000B0DC: 7F1A418D
	v_exp_f32_e32 v142, v142                                   // 00000000B0E0: 7F1C418E
	v_exp_f32_e32 v143, v143                                   // 00000000B0E4: 7F1E418F
	buffer_load_dwordx4 a[104:107], v39, s[20:23], 0 offen     // 00000000B0E8: E05C1000 80856827
	v_mul_f32_dpp v240, v252, v128 quad_perm:[0,0,0,0] row_mask:0xf bank_mask:0xf// 00000000B0F0: 0BE100FA FF0000FC
	v_mul_f32_dpp v241, v252, v129 quad_perm:[1,1,1,1] row_mask:0xf bank_mask:0xf// 00000000B0F8: 0BE302FA FF0055FC
	v_mul_f32_dpp v242, v252, v130 quad_perm:[2,2,2,2] row_mask:0xf bank_mask:0xf// 00000000B100: 0BE504FA FF00AAFC
	v_mul_f32_dpp v243, v252, v131 quad_perm:[3,3,3,3] row_mask:0xf bank_mask:0xf// 00000000B108: 0BE706FA FF00FFFC
	v_mul_f32_dpp v244, v253, v132 quad_perm:[0,0,0,0] row_mask:0xf bank_mask:0xf// 00000000B110: 0BE908FA FF0000FD
	v_mul_f32_dpp v245, v253, v133 quad_perm:[1,1,1,1] row_mask:0xf bank_mask:0xf// 00000000B118: 0BEB0AFA FF0055FD
	v_mul_f32_dpp v246, v253, v134 quad_perm:[2,2,2,2] row_mask:0xf bank_mask:0xf// 00000000B120: 0BED0CFA FF00AAFD
	v_mul_f32_dpp v247, v253, v135 quad_perm:[3,3,3,3] row_mask:0xf bank_mask:0xf// 00000000B128: 0BEF0EFA FF00FFFD
	v_mul_f32_dpp v248, v254, v136 quad_perm:[0,0,0,0] row_mask:0xf bank_mask:0xf// 00000000B130: 0BF110FA FF0000FE
	v_mul_f32_dpp v249, v254, v137 quad_perm:[1,1,1,1] row_mask:0xf bank_mask:0xf// 00000000B138: 0BF312FA FF0055FE
	v_mul_f32_dpp v250, v254, v138 quad_perm:[2,2,2,2] row_mask:0xf bank_mask:0xf// 00000000B140: 0BF514FA FF00AAFE
	v_mul_f32_dpp v251, v254, v139 quad_perm:[3,3,3,3] row_mask:0xf bank_mask:0xf// 00000000B148: 0BF716FA FF00FFFE
	v_mul_f32_dpp v252, v255, v140 quad_perm:[0,0,0,0] row_mask:0xf bank_mask:0xf// 00000000B150: 0BF918FA FF0000FF
	v_mul_f32_dpp v253, v255, v141 quad_perm:[1,1,1,1] row_mask:0xf bank_mask:0xf// 00000000B158: 0BFB1AFA FF0055FF
	v_mul_f32_dpp v254, v255, v142 quad_perm:[2,2,2,2] row_mask:0xf bank_mask:0xf// 00000000B160: 0BFD1CFA FF00AAFF
	v_mul_f32_dpp v255, v255, v143 quad_perm:[3,3,3,3] row_mask:0xf bank_mask:0xf// 00000000B168: 0BFF1EFA FF00FFFF
	v_mov_b32_e32 v62, 0x358637bd                              // 00000000B170: 7E7C02FF 358637BD
	v_max3_f32 v62, |v240|, |v241|, v62                        // 00000000B178: D1D3033E 04FBE3F0
	v_max3_f32 v62, |v242|, |v243|, v62                        // 00000000B180: D1D3033E 04FBE7F2
	v_max3_f32 v62, |v244|, |v245|, v62                        // 00000000B188: D1D3033E 04FBEBF4
	v_max3_f32 v62, |v246|, |v247|, v62                        // 00000000B190: D1D3033E 04FBEFF6
	v_max3_f32 v62, |v248|, |v249|, v62                        // 00000000B198: D1D3033E 04FBF3F8
	v_max3_f32 v62, |v250|, |v251|, v62                        // 00000000B1A0: D1D3033E 04FBF7FA
	v_max3_f32 v62, |v252|, |v253|, v62                        // 00000000B1A8: D1D3033E 04FBFBFC
	v_max3_f32 v62, |v254|, |v255|, v62                        // 00000000B1B0: D1D3033E 04FBFFFE
	buffer_load_dwordx4 a[108:111], v40, s[20:23], 0 offen     // 00000000B1B8: E05C1000 80856C28
	ds_write_b32 v11, v62 offset:20992                         // 00000000B1C0: D81A5200 00003E0B
	v_sub_f32_e32 v63, v14, v18                                // 00000000B1C8: 047E250E
	v_cndmask_b32_e64 v63, v63, 0, s[40:41]                    // 00000000B1CC: D100003F 00A1013F
	v_mov_b32_e32 v14, v18                                     // 00000000B1D4: 7E1C0312
	v_mul_f32_e32 v63, s64, v63                                // 00000000B1D8: 0A7E7E40
	v_exp_f32_e32 v63, v63                                     // 00000000B1DC: 7E7E413F
	s_waitcnt lgkmcnt(0)                                       // 00000000B1E0: BF8CC07F
	s_barrier                                                  // 00000000B1E4: BF8A0000
	ds_read_b32 v80, v10 offset:20992                          // 00000000B1E8: D86C5200 5000000A
	ds_read_b32 v81, v10 offset:21056                          // 00000000B1F0: D86C5240 5100000A
	ds_read_b32 v82, v10 offset:21120                          // 00000000B1F8: D86C5280 5200000A
	ds_read_b32 v83, v10 offset:21184                          // 00000000B200: D86C52C0 5300000A
	ds_read_b32 v84, v10 offset:21248                          // 00000000B208: D86C5300 5400000A
	ds_read_b32 v85, v10 offset:21312                          // 00000000B210: D86C5340 5500000A
	ds_read_b32 v86, v10 offset:21376                          // 00000000B218: D86C5380 5600000A
	ds_read_b32 v87, v10 offset:21440                          // 00000000B220: D86C53C0 5700000A
	ds_read_b32 v88, v10 offset:21504                          // 00000000B228: D86C5400 5800000A
	ds_read_b32 v89, v10 offset:21568                          // 00000000B230: D86C5440 5900000A
	ds_read_b32 v90, v10 offset:21632                          // 00000000B238: D86C5480 5A00000A
	ds_read_b32 v91, v10 offset:21696                          // 00000000B240: D86C54C0 5B00000A
	ds_read_b32 v92, v10 offset:21760                          // 00000000B248: D86C5500 5C00000A
	ds_read_b32 v93, v10 offset:21824                          // 00000000B250: D86C5540 5D00000A
	ds_read_b32 v94, v10 offset:21888                          // 00000000B258: D86C5580 5E00000A
	ds_read_b32 v95, v10 offset:21952                          // 00000000B260: D86C55C0 5F00000A
	v_mul_f32_e32 v47, v63, v47                                // 00000000B268: 0A5E5F3F
	v_mov_b32_e32 v18, v128                                    // 00000000B26C: 7E240380
	v_add_f32_e32 v18, v129, v18                               // 00000000B270: 02242581
	v_add_f32_e32 v18, v130, v18                               // 00000000B274: 02242582
	v_add_f32_e32 v18, v131, v18                               // 00000000B278: 02242583
	v_add_f32_e32 v18, v132, v18                               // 00000000B27C: 02242584
	v_add_f32_e32 v18, v133, v18                               // 00000000B280: 02242585
	v_add_f32_e32 v18, v134, v18                               // 00000000B284: 02242586
	v_add_f32_e32 v18, v135, v18                               // 00000000B288: 02242587
	v_add_f32_e32 v18, v136, v18                               // 00000000B28C: 02242588
	v_add_f32_e32 v18, v137, v18                               // 00000000B290: 02242589
	v_add_f32_e32 v18, v138, v18                               // 00000000B294: 0224258A
	v_add_f32_e32 v18, v139, v18                               // 00000000B298: 0224258B
	v_add_f32_e32 v18, v140, v18                               // 00000000B29C: 0224258C
	v_add_f32_e32 v18, v141, v18                               // 00000000B2A0: 0224258D
	v_add_f32_e32 v18, v142, v18                               // 00000000B2A4: 0224258E
	v_add_f32_e32 v18, v143, v18                               // 00000000B2A8: 0224258F
	v_add_f32_e32 v47, v18, v47                                // 00000000B2AC: 025E5F12
	s_waitcnt lgkmcnt(0)                                       // 00000000B2B0: BF8CC07F
	v_max3_f32 v62, |v80|, |v81|, v62                          // 00000000B2B4: D1D3033E 04FAA350
	v_max3_f32 v62, |v82|, |v83|, v62                          // 00000000B2BC: D1D3033E 04FAA752
	v_max3_f32 v62, |v84|, |v85|, v62                          // 00000000B2C4: D1D3033E 04FAAB54
	v_max3_f32 v62, |v86|, |v87|, v62                          // 00000000B2CC: D1D3033E 04FAAF56
	v_max3_f32 v62, |v88|, |v89|, v62                          // 00000000B2D4: D1D3033E 04FAB358
	v_max3_f32 v62, |v90|, |v91|, v62                          // 00000000B2DC: D1D3033E 04FAB75A
	v_max3_f32 v62, |v92|, |v93|, v62                          // 00000000B2E4: D1D3033E 04FABB5C
	v_max3_f32 v62, |v94|, |v95|, v62                          // 00000000B2EC: D1D3033E 04FABF5E
	s_nop 2                                                    // 00000000B2F4: BF800002
	v_rcp_f32_e32 v62, v62                                     // 00000000B2F8: 7E7C453E
	s_nop 1                                                    // 00000000B2FC: BF800001
	v_mul_f32_e32 v62, 0x42fe0000, v62                         // 00000000B300: 0A7C7CFF 42FE0000
	v_mul_f32_e32 v128, v62, v240                              // 00000000B308: 0B01E13E
	v_mul_f32_e32 v129, v62, v241                              // 00000000B30C: 0B03E33E
	v_mul_f32_e32 v130, v62, v242                              // 00000000B310: 0B05E53E
	v_mul_f32_e32 v131, v62, v243                              // 00000000B314: 0B07E73E
	v_mul_f32_e32 v132, v62, v244                              // 00000000B318: 0B09E93E
	v_mul_f32_e32 v133, v62, v245                              // 00000000B31C: 0B0BEB3E
	v_mul_f32_e32 v134, v62, v246                              // 00000000B320: 0B0DED3E
	v_mul_f32_e32 v135, v62, v247                              // 00000000B324: 0B0FEF3E
	v_mul_f32_e32 v136, v62, v248                              // 00000000B328: 0B11F13E
	v_mul_f32_e32 v137, v62, v249                              // 00000000B32C: 0B13F33E
	v_mul_f32_e32 v138, v62, v250                              // 00000000B330: 0B15F53E
	v_mul_f32_e32 v139, v62, v251                              // 00000000B334: 0B17F73E
	v_mul_f32_e32 v140, v62, v252                              // 00000000B338: 0B19F93E
	v_mul_f32_e32 v141, v62, v253                              // 00000000B33C: 0B1BFB3E
	v_mul_f32_e32 v142, v62, v254                              // 00000000B340: 0B1DFD3E
	v_mul_f32_e32 v143, v62, v255                              // 00000000B344: 0B1FFF3E
	v_cvt_i32_f32_e32 v128, v128                               // 00000000B348: 7F001180
	v_cvt_i32_f32_e32 v129, v129                               // 00000000B34C: 7F021181
	v_cvt_i32_f32_e32 v130, v130                               // 00000000B350: 7F041182
	v_cvt_i32_f32_e32 v131, v131                               // 00000000B354: 7F061183
	v_cvt_i32_f32_e32 v132, v132                               // 00000000B358: 7F081184
	v_cvt_i32_f32_e32 v133, v133                               // 00000000B35C: 7F0A1185
	v_cvt_i32_f32_e32 v134, v134                               // 00000000B360: 7F0C1186
	v_cvt_i32_f32_e32 v135, v135                               // 00000000B364: 7F0E1187
	v_cvt_i32_f32_e32 v136, v136                               // 00000000B368: 7F101188
	v_cvt_i32_f32_e32 v137, v137                               // 00000000B36C: 7F121189
	v_cvt_i32_f32_e32 v138, v138                               // 00000000B370: 7F14118A
	v_cvt_i32_f32_e32 v139, v139                               // 00000000B374: 7F16118B
	v_cvt_i32_f32_e32 v140, v140                               // 00000000B378: 7F18118C
	v_cvt_i32_f32_e32 v141, v141                               // 00000000B37C: 7F1A118D
	v_cvt_i32_f32_e32 v142, v142                               // 00000000B380: 7F1C118E
	v_cvt_i32_f32_e32 v143, v143                               // 00000000B384: 7F1E118F
	v_perm_b32 v128, v129, v128, s53                           // 00000000B388: D1ED0080 00D70181
	v_perm_b32 v128, v130, v128, s54                           // 00000000B390: D1ED0080 00DB0182
	v_perm_b32 v128, v131, v128, s55                           // 00000000B398: D1ED0080 00DF0183
	v_perm_b32 v129, v133, v132, s53                           // 00000000B3A0: D1ED0081 00D70985
	v_perm_b32 v129, v134, v129, s54                           // 00000000B3A8: D1ED0081 00DB0386
	v_perm_b32 v129, v135, v129, s55                           // 00000000B3B0: D1ED0081 00DF0387
	v_perm_b32 v130, v137, v136, s53                           // 00000000B3B8: D1ED0082 00D71189
	v_perm_b32 v130, v138, v130, s54                           // 00000000B3C0: D1ED0082 00DB058A
	v_perm_b32 v130, v139, v130, s55                           // 00000000B3C8: D1ED0082 00DF058B
	v_perm_b32 v131, v141, v140, s53                           // 00000000B3D0: D1ED0083 00D7198D
	v_perm_b32 v131, v142, v131, s54                           // 00000000B3D8: D1ED0083 00DB078E
	v_perm_b32 v131, v143, v131, s55                           // 00000000B3E0: D1ED0083 00DF078F
	ds_write_b32 v13, v128 offset:25088                        // 00000000B3E8: D81A6200 0000800D
	ds_write_b32 v13, v129 offset:26112                        // 00000000B3F0: D81A6600 0000810D
	ds_write_b32 v13, v130 offset:27136                        // 00000000B3F8: D81A6A00 0000820D
	ds_write_b32 v13, v131 offset:28160                        // 00000000B400: D81A6E00 0000830D
	v_add_f32_e32 v224, v224, v192                             // 00000000B408: 03C181E0
	v_add_f32_e32 v225, v225, v193                             // 00000000B40C: 03C383E1
	v_add_f32_e32 v226, v226, v194                             // 00000000B410: 03C585E2
	v_add_f32_e32 v227, v227, v195                             // 00000000B414: 03C787E3
	v_add_f32_e32 v228, v228, v196                             // 00000000B418: 03C989E4
	v_add_f32_e32 v229, v229, v197                             // 00000000B41C: 03CB8BE5
	v_add_f32_e32 v230, v230, v198                             // 00000000B420: 03CD8DE6
	v_add_f32_e32 v231, v231, v199                             // 00000000B424: 03CF8FE7
	v_rcp_f32_e32 v58, v62                                     // 00000000B428: 7E74453E
	s_waitcnt lgkmcnt(0)                                       // 00000000B42C: BF8CC07F
	s_barrier                                                  // 00000000B430: BF8A0000
	ds_read_b64 v[128:129], v12 offset:25088                   // 00000000B434: D8EC6200 8000000C
	ds_read_b64 v[130:131], v12 offset:25216                   // 00000000B43C: D8EC6280 8200000C
	ds_read_b64 v[132:133], v12 offset:26112                   // 00000000B444: D8EC6600 8400000C
	ds_read_b64 v[134:135], v12 offset:26240                   // 00000000B44C: D8EC6680 8600000C
	ds_read_b64 v[136:137], v12 offset:27136                   // 00000000B454: D8EC6A00 8800000C
	ds_read_b64 v[138:139], v12 offset:27264                   // 00000000B45C: D8EC6A80 8A00000C
	ds_read_b64 v[140:141], v12 offset:28160                   // 00000000B464: D8EC6E00 8C00000C
	ds_read_b64 v[142:143], v12 offset:28288                   // 00000000B46C: D8EC6E80 8E00000C
	v_mov_b32_dpp v41, v52 row_shr:4 row_mask:0xf bank_mask:0xf// 00000000B474: 7E5202FA FF011434
	v_mov_b32_dpp v42, v52 row_shl:4 row_mask:0xf bank_mask:0xf// 00000000B47C: 7E5402FA FF010434
	v_cndmask_b32_e64 v248, v52, v41, s[44:45]                 // 00000000B484: D10000F8 00B25334
	v_cndmask_b32_e64 v249, v42, v52, s[44:45]                 // 00000000B48C: D10000F9 00B2692A
	v_mov_b32_dpp v41, v248 row_shr:8 row_mask:0xf bank_mask:0xf// 00000000B494: 7E5202FA FF0118F8
	v_mov_b32_dpp v42, v248 row_shl:8 row_mask:0xf bank_mask:0xf// 00000000B49C: 7E5402FA FF0108F8
	v_mov_b32_dpp v43, v249 row_shr:8 row_mask:0xf bank_mask:0xf// 00000000B4A4: 7E5602FA FF0118F9
	v_mov_b32_dpp v44, v249 row_shl:8 row_mask:0xf bank_mask:0xf// 00000000B4AC: 7E5802FA FF0108F9
	v_mov_b32_e32 v45, v248                                    // 00000000B4B4: 7E5A03F8
	v_mov_b32_e32 v46, v249                                    // 00000000B4B8: 7E5C03F9
	v_cndmask_b32_e64 v248, v45, v41, s[42:43]                 // 00000000B4BC: D10000F8 00AA532D
	v_cndmask_b32_e64 v250, v45, v42, s[78:79]                 // 00000000B4C4: D10000FA 013A552D
	v_cndmask_b32_e64 v249, v46, v43, s[42:43]                 // 00000000B4CC: D10000F9 00AA572E
	v_cndmask_b32_e64 v251, v46, v44, s[78:79]                 // 00000000B4D4: D10000FB 013A592E
	v_mov_b32_dpp v41, v72 row_shr:4 row_mask:0xf bank_mask:0xf// 00000000B4DC: 7E5202FA FF011448
	v_mov_b32_dpp v42, v72 row_shl:4 row_mask:0xf bank_mask:0xf// 00000000B4E4: 7E5402FA FF010448
	v_cndmask_b32_e64 v252, v72, v41, s[44:45]                 // 00000000B4EC: D10000FC 00B25348
	v_cndmask_b32_e64 v253, v42, v72, s[44:45]                 // 00000000B4F4: D10000FD 00B2912A
	v_mov_b32_dpp v41, v252 row_shr:8 row_mask:0xf bank_mask:0xf// 00000000B4FC: 7E5202FA FF0118FC
	v_mov_b32_dpp v42, v252 row_shl:8 row_mask:0xf bank_mask:0xf// 00000000B504: 7E5402FA FF0108FC
	v_mov_b32_dpp v43, v253 row_shr:8 row_mask:0xf bank_mask:0xf// 00000000B50C: 7E5602FA FF0118FD
	v_mov_b32_dpp v44, v253 row_shl:8 row_mask:0xf bank_mask:0xf// 00000000B514: 7E5802FA FF0108FD
	v_mov_b32_e32 v45, v252                                    // 00000000B51C: 7E5A03FC
	v_mov_b32_e32 v46, v253                                    // 00000000B520: 7E5C03FD
	v_cndmask_b32_e64 v252, v45, v41, s[42:43]                 // 00000000B524: D10000FC 00AA532D
	v_cndmask_b32_e64 v254, v45, v42, s[78:79]                 // 00000000B52C: D10000FE 013A552D
	v_cndmask_b32_e64 v253, v46, v43, s[42:43]                 // 00000000B534: D10000FD 00AA572E
	v_cndmask_b32_e64 v255, v46, v44, s[78:79]                 // 00000000B53C: D10000FF 013A592E
	v_cvt_f32_i32_e32 v144, v144                               // 00000000B544: 7F200B90
	v_cvt_f32_i32_e32 v145, v145                               // 00000000B548: 7F220B91
	v_cvt_f32_i32_e32 v146, v146                               // 00000000B54C: 7F240B92
	v_cvt_f32_i32_e32 v147, v147                               // 00000000B550: 7F260B93
	v_cvt_f32_i32_e32 v148, v148                               // 00000000B554: 7F280B94
	v_cvt_f32_i32_e32 v149, v149                               // 00000000B558: 7F2A0B95
	v_cvt_f32_i32_e32 v150, v150                               // 00000000B55C: 7F2C0B96
	v_cvt_f32_i32_e32 v151, v151                               // 00000000B560: 7F2E0B97
	v_cvt_f32_i32_e32 v152, v152                               // 00000000B564: 7F300B98
	v_cvt_f32_i32_e32 v153, v153                               // 00000000B568: 7F320B99
	v_cvt_f32_i32_e32 v154, v154                               // 00000000B56C: 7F340B9A
	v_cvt_f32_i32_e32 v155, v155                               // 00000000B570: 7F360B9B
	v_cvt_f32_i32_e32 v156, v156                               // 00000000B574: 7F380B9C
	v_cvt_f32_i32_e32 v157, v157                               // 00000000B578: 7F3A0B9D
	v_cvt_f32_i32_e32 v158, v158                               // 00000000B57C: 7F3C0B9E
	v_cvt_f32_i32_e32 v159, v159                               // 00000000B580: 7F3E0B9F
	v_mul_f32_e32 v144, v55, v144                              // 00000000B584: 0B212137
	v_mul_f32_e32 v145, v55, v145                              // 00000000B588: 0B232337
	v_mul_f32_e32 v146, v55, v146                              // 00000000B58C: 0B252537
	v_mul_f32_e32 v147, v55, v147                              // 00000000B590: 0B272737
	v_mul_f32_e32 v148, v55, v148                              // 00000000B594: 0B292937
	v_mul_f32_e32 v149, v55, v149                              // 00000000B598: 0B2B2B37
	v_mul_f32_e32 v150, v55, v150                              // 00000000B59C: 0B2D2D37
	v_mul_f32_e32 v151, v55, v151                              // 00000000B5A0: 0B2F2F37
	v_mul_f32_e32 v152, v55, v152                              // 00000000B5A4: 0B313137
	v_mul_f32_e32 v153, v55, v153                              // 00000000B5A8: 0B333337
	v_mul_f32_e32 v154, v55, v154                              // 00000000B5AC: 0B353537
	v_mul_f32_e32 v155, v55, v155                              // 00000000B5B0: 0B373737
	v_mul_f32_e32 v156, v55, v156                              // 00000000B5B4: 0B393937
	v_mul_f32_e32 v157, v55, v157                              // 00000000B5B8: 0B3B3B37
	v_mul_f32_e32 v158, v55, v158                              // 00000000B5BC: 0B3D3D37
	v_mul_f32_e32 v159, v55, v159                              // 00000000B5C0: 0B3F3F37
	v_mul_f32_dpp v144, v248, v144 quad_perm:[0,0,0,0] row_mask:0xf bank_mask:0xf// 00000000B5C4: 0B2120FA FF0000F8
	v_mul_f32_dpp v145, v248, v145 quad_perm:[1,1,1,1] row_mask:0xf bank_mask:0xf// 00000000B5CC: 0B2322FA FF0055F8
	v_mul_f32_dpp v146, v248, v146 quad_perm:[2,2,2,2] row_mask:0xf bank_mask:0xf// 00000000B5D4: 0B2524FA FF00AAF8
	v_mul_f32_dpp v147, v248, v147 quad_perm:[3,3,3,3] row_mask:0xf bank_mask:0xf// 00000000B5DC: 0B2726FA FF00FFF8
	v_mul_f32_dpp v148, v249, v148 quad_perm:[0,0,0,0] row_mask:0xf bank_mask:0xf// 00000000B5E4: 0B2928FA FF0000F9
	v_mul_f32_dpp v149, v249, v149 quad_perm:[1,1,1,1] row_mask:0xf bank_mask:0xf// 00000000B5EC: 0B2B2AFA FF0055F9
	v_mul_f32_dpp v150, v249, v150 quad_perm:[2,2,2,2] row_mask:0xf bank_mask:0xf// 00000000B5F4: 0B2D2CFA FF00AAF9
	v_mul_f32_dpp v151, v249, v151 quad_perm:[3,3,3,3] row_mask:0xf bank_mask:0xf// 00000000B5FC: 0B2F2EFA FF00FFF9
	v_mul_f32_dpp v152, v250, v152 quad_perm:[0,0,0,0] row_mask:0xf bank_mask:0xf// 00000000B604: 0B3130FA FF0000FA
	v_mul_f32_dpp v153, v250, v153 quad_perm:[1,1,1,1] row_mask:0xf bank_mask:0xf// 00000000B60C: 0B3332FA FF0055FA
	v_mul_f32_dpp v154, v250, v154 quad_perm:[2,2,2,2] row_mask:0xf bank_mask:0xf// 00000000B614: 0B3534FA FF00AAFA
	v_mul_f32_dpp v155, v250, v155 quad_perm:[3,3,3,3] row_mask:0xf bank_mask:0xf// 00000000B61C: 0B3736FA FF00FFFA
	v_mul_f32_dpp v156, v251, v156 quad_perm:[0,0,0,0] row_mask:0xf bank_mask:0xf// 00000000B624: 0B3938FA FF0000FB
	v_mul_f32_dpp v157, v251, v157 quad_perm:[1,1,1,1] row_mask:0xf bank_mask:0xf// 00000000B62C: 0B3B3AFA FF0055FB
	v_mul_f32_dpp v158, v251, v158 quad_perm:[2,2,2,2] row_mask:0xf bank_mask:0xf// 00000000B634: 0B3D3CFA FF00AAFB
	v_mul_f32_dpp v159, v251, v159 quad_perm:[3,3,3,3] row_mask:0xf bank_mask:0xf// 00000000B63C: 0B3F3EFA FF00FFFB
	v_mov_b32_e32 v62, v144                                    // 00000000B644: 7E7C0390
	v_max3_f32 v62, v144, v145, v62                            // 00000000B648: D1D3003E 04FB2390
	v_max3_f32 v62, v146, v147, v62                            // 00000000B650: D1D3003E 04FB2792
	v_max3_f32 v62, v148, v149, v62                            // 00000000B658: D1D3003E 04FB2B94
	v_max3_f32 v62, v150, v151, v62                            // 00000000B660: D1D3003E 04FB2F96
	v_max3_f32 v62, v152, v153, v62                            // 00000000B668: D1D3003E 04FB3398
	v_max3_f32 v62, v154, v155, v62                            // 00000000B670: D1D3003E 04FB379A
	v_max3_f32 v62, v156, v157, v62                            // 00000000B678: D1D3003E 04FB3B9C
	v_max3_f32 v62, v158, v159, v62                            // 00000000B680: D1D3003E 04FB3F9E
	ds_write_b32 v11, v62 offset:16896                         // 00000000B688: D81A4200 00003E0B
	v_mul_f32_e32 v232, v64, v232                              // 00000000B690: 0BD1D140
	v_mul_f32_e32 v233, v64, v233                              // 00000000B694: 0BD3D340
	v_mul_f32_e32 v234, v64, v234                              // 00000000B698: 0BD5D540
	v_mul_f32_e32 v235, v64, v235                              // 00000000B69C: 0BD7D740
	v_mul_f32_e32 v236, v64, v236                              // 00000000B6A0: 0BD9D940
	v_mul_f32_e32 v237, v64, v237                              // 00000000B6A4: 0BDBDB40
	v_mul_f32_e32 v238, v64, v238                              // 00000000B6A8: 0BDDDD40
	v_mul_f32_e32 v239, v64, v239                              // 00000000B6AC: 0BDFDF40
	s_waitcnt lgkmcnt(0)                                       // 00000000B6B0: BF8CC07F
	s_barrier                                                  // 00000000B6B4: BF8A0000
	ds_read_b32 v80, v10 offset:16896                          // 00000000B6B8: D86C4200 5000000A
	ds_read_b32 v81, v10 offset:16960                          // 00000000B6C0: D86C4240 5100000A
	ds_read_b32 v82, v10 offset:17024                          // 00000000B6C8: D86C4280 5200000A
	ds_read_b32 v83, v10 offset:17088                          // 00000000B6D0: D86C42C0 5300000A
	ds_read_b32 v84, v10 offset:17152                          // 00000000B6D8: D86C4300 5400000A
	ds_read_b32 v85, v10 offset:17216                          // 00000000B6E0: D86C4340 5500000A
	ds_read_b32 v86, v10 offset:17280                          // 00000000B6E8: D86C4380 5600000A
	ds_read_b32 v87, v10 offset:17344                          // 00000000B6F0: D86C43C0 5700000A
	ds_read_b32 v88, v10 offset:17408                          // 00000000B6F8: D86C4400 5800000A
	ds_read_b32 v89, v10 offset:17472                          // 00000000B700: D86C4440 5900000A
	ds_read_b32 v90, v10 offset:17536                          // 00000000B708: D86C4480 5A00000A
	ds_read_b32 v91, v10 offset:17600                          // 00000000B710: D86C44C0 5B00000A
	ds_read_b32 v92, v10 offset:17664                          // 00000000B718: D86C4500 5C00000A
	ds_read_b32 v93, v10 offset:17728                          // 00000000B720: D86C4540 5D00000A
	ds_read_b32 v94, v10 offset:17792                          // 00000000B728: D86C4580 5E00000A
	ds_read_b32 v95, v10 offset:17856                          // 00000000B730: D86C45C0 5F00000A
	v_cvt_f32_i32_e32 v200, v200                               // 00000000B738: 7F900BC8
	v_cvt_f32_i32_e32 v201, v201                               // 00000000B73C: 7F920BC9
	v_cvt_f32_i32_e32 v202, v202                               // 00000000B740: 7F940BCA
	v_cvt_f32_i32_e32 v203, v203                               // 00000000B744: 7F960BCB
	v_cvt_f32_i32_e32 v204, v204                               // 00000000B748: 7F980BCC
	v_cvt_f32_i32_e32 v205, v205                               // 00000000B74C: 7F9A0BCD
	v_cvt_f32_i32_e32 v206, v206                               // 00000000B750: 7F9C0BCE
	v_cvt_f32_i32_e32 v207, v207                               // 00000000B754: 7F9E0BCF
	v_mul_f32_e32 v200, v59, v200                              // 00000000B758: 0B91913B
	v_mul_f32_e32 v201, v59, v201                              // 00000000B75C: 0B93933B
	v_mul_f32_e32 v202, v59, v202                              // 00000000B760: 0B95953B
	v_mul_f32_e32 v203, v59, v203                              // 00000000B764: 0B97973B
	v_mul_f32_e32 v204, v59, v204                              // 00000000B768: 0B99993B
	v_mul_f32_e32 v205, v59, v205                              // 00000000B76C: 0B9B9B3B
	v_mul_f32_e32 v206, v59, v206                              // 00000000B770: 0B9D9D3B
	v_mul_f32_e32 v207, v59, v207                              // 00000000B774: 0B9F9F3B
	s_waitcnt lgkmcnt(0)                                       // 00000000B778: BF8CC07F
	v_max3_f32 v62, v80, v81, v62                              // 00000000B77C: D1D3003E 04FAA350
	v_max3_f32 v62, v82, v83, v62                              // 00000000B784: D1D3003E 04FAA752
	v_max3_f32 v62, v84, v85, v62                              // 00000000B78C: D1D3003E 04FAAB54
	v_max3_f32 v62, v86, v87, v62                              // 00000000B794: D1D3003E 04FAAF56
	v_max3_f32 v62, v88, v89, v62                              // 00000000B79C: D1D3003E 04FAB358
	v_max3_f32 v62, v90, v91, v62                              // 00000000B7A4: D1D3003E 04FAB75A
	v_max3_f32 v62, v92, v93, v62                              // 00000000B7AC: D1D3003E 04FABB5C
	v_max3_f32 v62, v94, v95, v62                              // 00000000B7B4: D1D3003E 04FABF5E
	v_mov_b32_e32 v41, 0xff800000                              // 00000000B7BC: 7E5202FF FF800000
	v_cmp_eq_u32_e64 s[40:41], v41, v15                        // 00000000B7C4: D0CA0028 00021F29
	s_nop 1                                                    // 00000000B7CC: BF800001
	v_max_f32_e32 v18, v62, v15                                // 00000000B7D0: 16241F3E
	v_mul_f32_e32 v67, s64, v18                                // 00000000B7D4: 0A862440
	v_fma_f32 v144, v144, s64, -v67                            // 00000000B7D8: D1CB0090 850C8190
	v_fma_f32 v145, v145, s64, -v67                            // 00000000B7E0: D1CB0091 850C8191
	v_fma_f32 v146, v146, s64, -v67                            // 00000000B7E8: D1CB0092 850C8192
	v_fma_f32 v147, v147, s64, -v67                            // 00000000B7F0: D1CB0093 850C8193
	v_fma_f32 v148, v148, s64, -v67                            // 00000000B7F8: D1CB0094 850C8194
	v_fma_f32 v149, v149, s64, -v67                            // 00000000B800: D1CB0095 850C8195
	v_fma_f32 v150, v150, s64, -v67                            // 00000000B808: D1CB0096 850C8196
	v_fma_f32 v151, v151, s64, -v67                            // 00000000B810: D1CB0097 850C8197
	v_fma_f32 v152, v152, s64, -v67                            // 00000000B818: D1CB0098 850C8198
	v_fma_f32 v153, v153, s64, -v67                            // 00000000B820: D1CB0099 850C8199
	v_fma_f32 v154, v154, s64, -v67                            // 00000000B828: D1CB009A 850C819A
	v_fma_f32 v155, v155, s64, -v67                            // 00000000B830: D1CB009B 850C819B
	v_fma_f32 v156, v156, s64, -v67                            // 00000000B838: D1CB009C 850C819C
	v_fma_f32 v157, v157, s64, -v67                            // 00000000B840: D1CB009D 850C819D
	v_fma_f32 v158, v158, s64, -v67                            // 00000000B848: D1CB009E 850C819E
	v_fma_f32 v159, v159, s64, -v67                            // 00000000B850: D1CB009F 850C819F
	v_exp_f32_e32 v144, v144                                   // 00000000B858: 7F204190
	v_exp_f32_e32 v145, v145                                   // 00000000B85C: 7F224191
	v_exp_f32_e32 v146, v146                                   // 00000000B860: 7F244192
	v_exp_f32_e32 v147, v147                                   // 00000000B864: 7F264193
	v_exp_f32_e32 v148, v148                                   // 00000000B868: 7F284194
	v_exp_f32_e32 v149, v149                                   // 00000000B86C: 7F2A4195
	v_exp_f32_e32 v150, v150                                   // 00000000B870: 7F2C4196
	v_exp_f32_e32 v151, v151                                   // 00000000B874: 7F2E4197
	v_exp_f32_e32 v152, v152                                   // 00000000B878: 7F304198
	v_exp_f32_e32 v153, v153                                   // 00000000B87C: 7F324199
	v_exp_f32_e32 v154, v154                                   // 00000000B880: 7F34419A
	v_exp_f32_e32 v155, v155                                   // 00000000B884: 7F36419B
	v_exp_f32_e32 v156, v156                                   // 00000000B888: 7F38419C
	v_exp_f32_e32 v157, v157                                   // 00000000B88C: 7F3A419D
	v_exp_f32_e32 v158, v158                                   // 00000000B890: 7F3C419E
	v_exp_f32_e32 v159, v159                                   // 00000000B894: 7F3E419F
	v_mul_f32_dpp v240, v252, v144 quad_perm:[0,0,0,0] row_mask:0xf bank_mask:0xf// 00000000B898: 0BE120FA FF0000FC
	v_mul_f32_dpp v241, v252, v145 quad_perm:[1,1,1,1] row_mask:0xf bank_mask:0xf// 00000000B8A0: 0BE322FA FF0055FC
	v_mul_f32_dpp v242, v252, v146 quad_perm:[2,2,2,2] row_mask:0xf bank_mask:0xf// 00000000B8A8: 0BE524FA FF00AAFC
	v_mul_f32_dpp v243, v252, v147 quad_perm:[3,3,3,3] row_mask:0xf bank_mask:0xf// 00000000B8B0: 0BE726FA FF00FFFC
	v_mul_f32_dpp v244, v253, v148 quad_perm:[0,0,0,0] row_mask:0xf bank_mask:0xf// 00000000B8B8: 0BE928FA FF0000FD
	v_mul_f32_dpp v245, v253, v149 quad_perm:[1,1,1,1] row_mask:0xf bank_mask:0xf// 00000000B8C0: 0BEB2AFA FF0055FD
	v_mul_f32_dpp v246, v253, v150 quad_perm:[2,2,2,2] row_mask:0xf bank_mask:0xf// 00000000B8C8: 0BED2CFA FF00AAFD
	v_mul_f32_dpp v247, v253, v151 quad_perm:[3,3,3,3] row_mask:0xf bank_mask:0xf// 00000000B8D0: 0BEF2EFA FF00FFFD
	v_mul_f32_dpp v248, v254, v152 quad_perm:[0,0,0,0] row_mask:0xf bank_mask:0xf// 00000000B8D8: 0BF130FA FF0000FE
	v_mul_f32_dpp v249, v254, v153 quad_perm:[1,1,1,1] row_mask:0xf bank_mask:0xf// 00000000B8E0: 0BF332FA FF0055FE
	v_mul_f32_dpp v250, v254, v154 quad_perm:[2,2,2,2] row_mask:0xf bank_mask:0xf// 00000000B8E8: 0BF534FA FF00AAFE
	v_mul_f32_dpp v251, v254, v155 quad_perm:[3,3,3,3] row_mask:0xf bank_mask:0xf// 00000000B8F0: 0BF736FA FF00FFFE
	v_mul_f32_dpp v252, v255, v156 quad_perm:[0,0,0,0] row_mask:0xf bank_mask:0xf// 00000000B8F8: 0BF938FA FF0000FF
	v_mul_f32_dpp v253, v255, v157 quad_perm:[1,1,1,1] row_mask:0xf bank_mask:0xf// 00000000B900: 0BFB3AFA FF0055FF
	v_mul_f32_dpp v254, v255, v158 quad_perm:[2,2,2,2] row_mask:0xf bank_mask:0xf// 00000000B908: 0BFD3CFA FF00AAFF
	v_mul_f32_dpp v255, v255, v159 quad_perm:[3,3,3,3] row_mask:0xf bank_mask:0xf// 00000000B910: 0BFF3EFA FF00FFFF
	v_mov_b32_e32 v62, 0x358637bd                              // 00000000B918: 7E7C02FF 358637BD
	v_max3_f32 v62, |v240|, |v241|, v62                        // 00000000B920: D1D3033E 04FBE3F0
	v_max3_f32 v62, |v242|, |v243|, v62                        // 00000000B928: D1D3033E 04FBE7F2
	v_max3_f32 v62, |v244|, |v245|, v62                        // 00000000B930: D1D3033E 04FBEBF4
	v_max3_f32 v62, |v246|, |v247|, v62                        // 00000000B938: D1D3033E 04FBEFF6
	v_max3_f32 v62, |v248|, |v249|, v62                        // 00000000B940: D1D3033E 04FBF3F8
	v_max3_f32 v62, |v250|, |v251|, v62                        // 00000000B948: D1D3033E 04FBF7FA
	v_max3_f32 v62, |v252|, |v253|, v62                        // 00000000B950: D1D3033E 04FBFBFC
	v_max3_f32 v62, |v254|, |v255|, v62                        // 00000000B958: D1D3033E 04FBFFFE
	ds_write_b32 v11, v62 offset:20992                         // 00000000B960: D81A5200 00003E0B
	v_sub_f32_e32 v64, v15, v18                                // 00000000B968: 0480250F
	v_cndmask_b32_e64 v64, v64, 0, s[40:41]                    // 00000000B96C: D1000040 00A10140
	v_mov_b32_e32 v15, v18                                     // 00000000B974: 7E1E0312
	v_mul_f32_e32 v64, s64, v64                                // 00000000B978: 0A808040
	v_exp_f32_e32 v64, v64                                     // 00000000B97C: 7E804140
	s_waitcnt lgkmcnt(0)                                       // 00000000B980: BF8CC07F
	s_barrier                                                  // 00000000B984: BF8A0000
	ds_read_b32 v80, v10 offset:20992                          // 00000000B988: D86C5200 5000000A
	ds_read_b32 v81, v10 offset:21056                          // 00000000B990: D86C5240 5100000A
	ds_read_b32 v82, v10 offset:21120                          // 00000000B998: D86C5280 5200000A
	ds_read_b32 v83, v10 offset:21184                          // 00000000B9A0: D86C52C0 5300000A
	ds_read_b32 v84, v10 offset:21248                          // 00000000B9A8: D86C5300 5400000A
	ds_read_b32 v85, v10 offset:21312                          // 00000000B9B0: D86C5340 5500000A
	ds_read_b32 v86, v10 offset:21376                          // 00000000B9B8: D86C5380 5600000A
	ds_read_b32 v87, v10 offset:21440                          // 00000000B9C0: D86C53C0 5700000A
	ds_read_b32 v88, v10 offset:21504                          // 00000000B9C8: D86C5400 5800000A
	ds_read_b32 v89, v10 offset:21568                          // 00000000B9D0: D86C5440 5900000A
	ds_read_b32 v90, v10 offset:21632                          // 00000000B9D8: D86C5480 5A00000A
	ds_read_b32 v91, v10 offset:21696                          // 00000000B9E0: D86C54C0 5B00000A
	ds_read_b32 v92, v10 offset:21760                          // 00000000B9E8: D86C5500 5C00000A
	ds_read_b32 v93, v10 offset:21824                          // 00000000B9F0: D86C5540 5D00000A
	ds_read_b32 v94, v10 offset:21888                          // 00000000B9F8: D86C5580 5E00000A
	ds_read_b32 v95, v10 offset:21952                          // 00000000BA00: D86C55C0 5F00000A
	v_mul_f32_e32 v48, v64, v48                                // 00000000BA08: 0A606140
	v_mov_b32_e32 v18, v144                                    // 00000000BA0C: 7E240390
	v_add_f32_e32 v18, v145, v18                               // 00000000BA10: 02242591
	v_add_f32_e32 v18, v146, v18                               // 00000000BA14: 02242592
	v_add_f32_e32 v18, v147, v18                               // 00000000BA18: 02242593
	v_add_f32_e32 v18, v148, v18                               // 00000000BA1C: 02242594
	v_add_f32_e32 v18, v149, v18                               // 00000000BA20: 02242595
	v_add_f32_e32 v18, v150, v18                               // 00000000BA24: 02242596
	v_add_f32_e32 v18, v151, v18                               // 00000000BA28: 02242597
	v_add_f32_e32 v18, v152, v18                               // 00000000BA2C: 02242598
	v_add_f32_e32 v18, v153, v18                               // 00000000BA30: 02242599
	v_add_f32_e32 v18, v154, v18                               // 00000000BA34: 0224259A
	v_add_f32_e32 v18, v155, v18                               // 00000000BA38: 0224259B
	v_add_f32_e32 v18, v156, v18                               // 00000000BA3C: 0224259C
	v_add_f32_e32 v18, v157, v18                               // 00000000BA40: 0224259D
	v_add_f32_e32 v18, v158, v18                               // 00000000BA44: 0224259E
	v_add_f32_e32 v18, v159, v18                               // 00000000BA48: 0224259F
	v_add_f32_e32 v48, v18, v48                                // 00000000BA4C: 02606112
	s_waitcnt lgkmcnt(0)                                       // 00000000BA50: BF8CC07F
	v_max3_f32 v62, |v80|, |v81|, v62                          // 00000000BA54: D1D3033E 04FAA350
	v_max3_f32 v62, |v82|, |v83|, v62                          // 00000000BA5C: D1D3033E 04FAA752
	v_max3_f32 v62, |v84|, |v85|, v62                          // 00000000BA64: D1D3033E 04FAAB54
	v_max3_f32 v62, |v86|, |v87|, v62                          // 00000000BA6C: D1D3033E 04FAAF56
	v_max3_f32 v62, |v88|, |v89|, v62                          // 00000000BA74: D1D3033E 04FAB358
	v_max3_f32 v62, |v90|, |v91|, v62                          // 00000000BA7C: D1D3033E 04FAB75A
	v_max3_f32 v62, |v92|, |v93|, v62                          // 00000000BA84: D1D3033E 04FABB5C
	v_max3_f32 v62, |v94|, |v95|, v62                          // 00000000BA8C: D1D3033E 04FABF5E
	s_nop 2                                                    // 00000000BA94: BF800002
	v_rcp_f32_e32 v62, v62                                     // 00000000BA98: 7E7C453E
	s_nop 1                                                    // 00000000BA9C: BF800001
	v_mul_f32_e32 v62, 0x42fe0000, v62                         // 00000000BAA0: 0A7C7CFF 42FE0000
	v_mul_f32_e32 v144, v62, v240                              // 00000000BAA8: 0B21E13E
	v_mul_f32_e32 v145, v62, v241                              // 00000000BAAC: 0B23E33E
	v_mul_f32_e32 v146, v62, v242                              // 00000000BAB0: 0B25E53E
	v_mul_f32_e32 v147, v62, v243                              // 00000000BAB4: 0B27E73E
	v_mul_f32_e32 v148, v62, v244                              // 00000000BAB8: 0B29E93E
	v_mul_f32_e32 v149, v62, v245                              // 00000000BABC: 0B2BEB3E
	v_mul_f32_e32 v150, v62, v246                              // 00000000BAC0: 0B2DED3E
	v_mul_f32_e32 v151, v62, v247                              // 00000000BAC4: 0B2FEF3E
	v_mul_f32_e32 v152, v62, v248                              // 00000000BAC8: 0B31F13E
	v_mul_f32_e32 v153, v62, v249                              // 00000000BACC: 0B33F33E
	v_mul_f32_e32 v154, v62, v250                              // 00000000BAD0: 0B35F53E
	v_mul_f32_e32 v155, v62, v251                              // 00000000BAD4: 0B37F73E
	v_mul_f32_e32 v156, v62, v252                              // 00000000BAD8: 0B39F93E
	v_mul_f32_e32 v157, v62, v253                              // 00000000BADC: 0B3BFB3E
	v_mul_f32_e32 v158, v62, v254                              // 00000000BAE0: 0B3DFD3E
	v_mul_f32_e32 v159, v62, v255                              // 00000000BAE4: 0B3FFF3E
	v_cvt_i32_f32_e32 v144, v144                               // 00000000BAE8: 7F201190
	v_cvt_i32_f32_e32 v145, v145                               // 00000000BAEC: 7F221191
	v_cvt_i32_f32_e32 v146, v146                               // 00000000BAF0: 7F241192
	v_cvt_i32_f32_e32 v147, v147                               // 00000000BAF4: 7F261193
	v_cvt_i32_f32_e32 v148, v148                               // 00000000BAF8: 7F281194
	v_cvt_i32_f32_e32 v149, v149                               // 00000000BAFC: 7F2A1195
	v_cvt_i32_f32_e32 v150, v150                               // 00000000BB00: 7F2C1196
	v_cvt_i32_f32_e32 v151, v151                               // 00000000BB04: 7F2E1197
	v_cvt_i32_f32_e32 v152, v152                               // 00000000BB08: 7F301198
	v_cvt_i32_f32_e32 v153, v153                               // 00000000BB0C: 7F321199
	v_cvt_i32_f32_e32 v154, v154                               // 00000000BB10: 7F34119A
	v_cvt_i32_f32_e32 v155, v155                               // 00000000BB14: 7F36119B
	v_cvt_i32_f32_e32 v156, v156                               // 00000000BB18: 7F38119C
	v_cvt_i32_f32_e32 v157, v157                               // 00000000BB1C: 7F3A119D
	v_cvt_i32_f32_e32 v158, v158                               // 00000000BB20: 7F3C119E
	v_cvt_i32_f32_e32 v159, v159                               // 00000000BB24: 7F3E119F
	v_perm_b32 v144, v145, v144, s53                           // 00000000BB28: D1ED0090 00D72191
	v_perm_b32 v144, v146, v144, s54                           // 00000000BB30: D1ED0090 00DB2192
	v_perm_b32 v144, v147, v144, s55                           // 00000000BB38: D1ED0090 00DF2193
	v_perm_b32 v145, v149, v148, s53                           // 00000000BB40: D1ED0091 00D72995
	v_perm_b32 v145, v150, v145, s54                           // 00000000BB48: D1ED0091 00DB2396
	v_perm_b32 v145, v151, v145, s55                           // 00000000BB50: D1ED0091 00DF2397
	v_perm_b32 v146, v153, v152, s53                           // 00000000BB58: D1ED0092 00D73199
	v_perm_b32 v146, v154, v146, s54                           // 00000000BB60: D1ED0092 00DB259A
	v_perm_b32 v146, v155, v146, s55                           // 00000000BB68: D1ED0092 00DF259B
	v_perm_b32 v147, v157, v156, s53                           // 00000000BB70: D1ED0093 00D7399D
	v_perm_b32 v147, v158, v147, s54                           // 00000000BB78: D1ED0093 00DB279E
	v_perm_b32 v147, v159, v147, s55                           // 00000000BB80: D1ED0093 00DF279F
	ds_write_b32 v13, v144 offset:29184                        // 00000000BB88: D81A7200 0000900D
	ds_write_b32 v13, v145 offset:30208                        // 00000000BB90: D81A7600 0000910D
	ds_write_b32 v13, v146 offset:31232                        // 00000000BB98: D81A7A00 0000920D
	ds_write_b32 v13, v147 offset:32256                        // 00000000BBA0: D81A7E00 0000930D
	v_add_f32_e32 v232, v232, v200                             // 00000000BBA8: 03D191E8
	v_add_f32_e32 v233, v233, v201                             // 00000000BBAC: 03D393E9
	v_add_f32_e32 v234, v234, v202                             // 00000000BBB0: 03D595EA
	v_add_f32_e32 v235, v235, v203                             // 00000000BBB4: 03D797EB
	v_add_f32_e32 v236, v236, v204                             // 00000000BBB8: 03D999EC
	v_add_f32_e32 v237, v237, v205                             // 00000000BBBC: 03DB9BED
	v_add_f32_e32 v238, v238, v206                             // 00000000BBC0: 03DD9DEE
	v_add_f32_e32 v239, v239, v207                             // 00000000BBC4: 03DF9FEF
	v_rcp_f32_e32 v59, v62                                     // 00000000BBC8: 7E76453E
	s_waitcnt lgkmcnt(0)                                       // 00000000BBCC: BF8CC07F
	s_barrier                                                  // 00000000BBD0: BF8A0000
	ds_read_b64 v[144:145], v12 offset:29184                   // 00000000BBD4: D8EC7200 9000000C
	ds_read_b64 v[146:147], v12 offset:29312                   // 00000000BBDC: D8EC7280 9200000C
	ds_read_b64 v[148:149], v12 offset:30208                   // 00000000BBE4: D8EC7600 9400000C
	ds_read_b64 v[150:151], v12 offset:30336                   // 00000000BBEC: D8EC7680 9600000C
	ds_read_b64 v[152:153], v12 offset:31232                   // 00000000BBF4: D8EC7A00 9800000C
	ds_read_b64 v[154:155], v12 offset:31360                   // 00000000BBFC: D8EC7A80 9A00000C
	ds_read_b64 v[156:157], v12 offset:32256                   // 00000000BC04: D8EC7E00 9C00000C
	ds_read_b64 v[158:159], v12 offset:32384                   // 00000000BC0C: D8EC7E80 9E00000C
	s_waitcnt vmcnt(15)                                        // 00000000BC14: BF8C0F7F
	v_mfma_i32_16x16x32_i8 v[192:195], a[64:65], v[128:129], 0 // 00000000BC18: D3D700C0 0A030140
	v_mfma_i32_16x16x32_i8 v[192:195], a[66:67], v[130:131], v[192:195]// 00000000BC20: D3D700C0 0F030542
	buffer_load_dwordx4 a[112:115], v37, s[20:23], 0 offen offset:1024// 00000000BC28: E05C1400 80857025
	v_mfma_i32_16x16x32_i8 v[192:195], a[68:69], v[132:133], v[192:195]// 00000000BC30: D3D700C0 0F030944
	v_mfma_i32_16x16x32_i8 v[192:195], a[70:71], v[134:135], v[192:195]// 00000000BC38: D3D700C0 0F030D46
	v_mfma_i32_16x16x32_i8 v[192:195], a[72:73], v[136:137], v[192:195]// 00000000BC40: D3D700C0 0F031148
	v_mfma_i32_16x16x32_i8 v[192:195], a[74:75], v[138:139], v[192:195]// 00000000BC48: D3D700C0 0F03154A
	buffer_load_dwordx4 a[116:119], v38, s[20:23], 0 offen offset:1024// 00000000BC50: E05C1400 80857426
	v_mfma_i32_16x16x32_i8 v[192:195], a[76:77], v[140:141], v[192:195]// 00000000BC58: D3D700C0 0F03194C
	v_mfma_i32_16x16x32_i8 v[192:195], a[78:79], v[142:143], v[192:195]// 00000000BC60: D3D700C0 0F031D4E
	v_mfma_i32_16x16x32_i8 v[196:199], a[80:81], v[128:129], 0 // 00000000BC68: D3D700C4 0A030150
	v_mfma_i32_16x16x32_i8 v[196:199], a[82:83], v[130:131], v[196:199]// 00000000BC70: D3D700C4 0F130552
	buffer_load_dwordx4 a[120:123], v39, s[20:23], 0 offen offset:1024// 00000000BC78: E05C1400 80857827
	v_mfma_i32_16x16x32_i8 v[196:199], a[84:85], v[132:133], v[196:199]// 00000000BC80: D3D700C4 0F130954
	v_mfma_i32_16x16x32_i8 v[196:199], a[86:87], v[134:135], v[196:199]// 00000000BC88: D3D700C4 0F130D56
	v_mfma_i32_16x16x32_i8 v[196:199], a[88:89], v[136:137], v[196:199]// 00000000BC90: D3D700C4 0F131158
	v_mfma_i32_16x16x32_i8 v[196:199], a[90:91], v[138:139], v[196:199]// 00000000BC98: D3D700C4 0F13155A
	buffer_load_dwordx4 a[124:127], v40, s[20:23], 0 offen offset:1024// 00000000BCA0: E05C1400 80857C28
	v_mfma_i32_16x16x32_i8 v[196:199], a[92:93], v[140:141], v[196:199]// 00000000BCA8: D3D700C4 0F13195C
	s_lshr_b32 s57, s70, 4                                     // 00000000BCB0: 8F398446
	s_add_u32 s57, 48, s57                                     // 00000000BCB4: 803939B0
	v_mfma_i32_16x16x32_i8 v[196:199], a[94:95], v[142:143], v[196:199]// 00000000BCB8: D3D700C4 0F131D5E
	s_cmp_ge_u32 s57, s73                                      // 00000000BCC0: BF094939
	s_cselect_b32 s56, 0, s56                                  // 00000000BCC4: 85383880
	v_mfma_i32_16x16x32_i8 v[200:203], a[64:65], v[144:145], 0 // 00000000BCC8: D3D700C8 0A032140
	v_mfma_i32_16x16x32_i8 v[200:203], a[66:67], v[146:147], v[200:203]// 00000000BCD0: D3D700C8 0F232542
	v_mfma_i32_16x16x32_i8 v[200:203], a[68:69], v[148:149], v[200:203]// 00000000BCD8: D3D700C8 0F232944
	v_mfma_i32_16x16x32_i8 v[200:203], a[70:71], v[150:151], v[200:203]// 00000000BCE0: D3D700C8 0F232D46
	v_mfma_i32_16x16x32_i8 v[200:203], a[72:73], v[152:153], v[200:203]// 00000000BCE8: D3D700C8 0F233148
	v_mfma_i32_16x16x32_i8 v[200:203], a[74:75], v[154:155], v[200:203]// 00000000BCF0: D3D700C8 0F23354A
	v_mfma_i32_16x16x32_i8 v[200:203], a[76:77], v[156:157], v[200:203]// 00000000BCF8: D3D700C8 0F23394C
	v_mfma_i32_16x16x32_i8 v[200:203], a[78:79], v[158:159], v[200:203]// 00000000BD00: D3D700C8 0F233D4E
	v_mfma_i32_16x16x32_i8 v[204:207], a[80:81], v[144:145], 0 // 00000000BD08: D3D700CC 0A032150
	v_mfma_i32_16x16x32_i8 v[204:207], a[82:83], v[146:147], v[204:207]// 00000000BD10: D3D700CC 0F332552
	v_mfma_i32_16x16x32_i8 v[204:207], a[84:85], v[148:149], v[204:207]// 00000000BD18: D3D700CC 0F332954
	v_mfma_i32_16x16x32_i8 v[204:207], a[86:87], v[150:151], v[204:207]// 00000000BD20: D3D700CC 0F332D56
	v_mfma_i32_16x16x32_i8 v[204:207], a[88:89], v[152:153], v[204:207]// 00000000BD28: D3D700CC 0F333158
	v_mfma_i32_16x16x32_i8 v[204:207], a[90:91], v[154:155], v[204:207]// 00000000BD30: D3D700CC 0F33355A
	v_mfma_i32_16x16x32_i8 v[204:207], a[92:93], v[156:157], v[204:207]// 00000000BD38: D3D700CC 0F33395C
	v_mfma_i32_16x16x32_i8 v[204:207], a[94:95], v[158:159], v[204:207]// 00000000BD40: D3D700CC 0F333D5E
	v_add_u32_e32 v1, s56, v1                                  // 00000000BD48: 68020238
	s_addk_i32 s70, 0x100                                      // 00000000BD4C: B7460100
	s_cmp_lt_i32 s70, s71                                      // 00000000BD50: BF044746
	s_cbranch_scc0 label_2B75                                  // 00000000BD54: BF84049F
	s_waitcnt vmcnt(8) lgkmcnt(0)                              // 00000000BD58: BF8C0078
	v_mul_u32_u24_dpp v41, v19, v68 row_newbcast:0 row_mask:0xf bank_mask:0xf// 00000000BD5C: 105288FA FF015013
	v_mul_u32_u24_dpp v42, v19, v68 row_newbcast:4 row_mask:0xf bank_mask:0xf// 00000000BD64: 105488FA FF015413
	v_mul_u32_u24_dpp v43, v19, v68 row_newbcast:8 row_mask:0xf bank_mask:0xf// 00000000BD6C: 105688FA FF015813
	v_mul_u32_u24_dpp v44, v19, v68 row_newbcast:12 row_mask:0xf bank_mask:0xf// 00000000BD74: 105888FA FF015C13
	v_add_u32_e32 v25, v41, v6                                 // 00000000BD7C: 68320D29
	v_add_u32_e32 v26, v42, v6                                 // 00000000BD80: 68340D2A
	v_add_u32_e32 v27, v43, v6                                 // 00000000BD84: 68360D2B
	v_add_u32_e32 v28, v44, v6                                 // 00000000BD88: 68380D2C
	v_mul_u32_u24_dpp v41, v19, v78 quad_perm:[0,0,0,0] row_mask:0xf bank_mask:0xf// 00000000BD8C: 10529CFA FF000013
	v_add_u32_e32 v2, v41, v74                                 // 00000000BD94: 68049529
	v_mul_u32_u24_dpp v41, v19, v78 quad_perm:[0,0,0,0] row_mask:0xf bank_mask:0xf// 00000000BD98: 10529CFA FF000013
	v_add_u32_e32 v70, v41, v75                                // 00000000BDA0: 688C9729
	v_mfma_i32_16x16x32_i8 v[128:131], a[32:33], v[96:97], 0   // 00000000BDA4: D3D70080 0A02C120
	v_mfma_i32_16x16x32_i8 v[128:131], a[34:35], v[98:99], v[128:131]// 00000000BDAC: D3D70080 0E02C522
	buffer_load_dwordx4 a[0:3], v25, s[16:19], 0 offen         // 00000000BDB4: E05C1000 80840019
	v_mfma_i32_16x16x32_i8 v[128:131], a[36:37], v[100:101], v[128:131]// 00000000BDBC: D3D70080 0E02C924
	v_mfma_i32_16x16x32_i8 v[128:131], a[38:39], v[102:103], v[128:131]// 00000000BDC4: D3D70080 0E02CD26
	buffer_load_dword v20, v1, s[24:27], 0 offen               // 00000000BDCC: E0501000 80061401
	v_mfma_i32_16x16x32_i8 v[132:135], a[40:41], v[96:97], 0   // 00000000BDD4: D3D70084 0A02C128
	v_mfma_i32_16x16x32_i8 v[132:135], a[42:43], v[98:99], v[132:135]// 00000000BDDC: D3D70084 0E12C52A
	buffer_load_dwordx4 a[4:7], v25, s[16:19], 0 offen offset:1024// 00000000BDE4: E05C1400 80840419
	v_mfma_i32_16x16x32_i8 v[132:135], a[44:45], v[100:101], v[132:135]// 00000000BDEC: D3D70084 0E12C92C
	v_mfma_i32_16x16x32_i8 v[132:135], a[46:47], v[102:103], v[132:135]// 00000000BDF4: D3D70084 0E12CD2E
	v_mfma_i32_16x16x32_i8 v[136:139], a[48:49], v[96:97], 0   // 00000000BDFC: D3D70088 0A02C130
	v_mfma_i32_16x16x32_i8 v[136:139], a[50:51], v[98:99], v[136:139]// 00000000BE04: D3D70088 0E22C532
	buffer_load_dwordx4 a[8:11], v26, s[16:19], 0 offen        // 00000000BE0C: E05C1000 8084081A
	v_mfma_i32_16x16x32_i8 v[136:139], a[52:53], v[100:101], v[136:139]// 00000000BE14: D3D70088 0E22C934
	v_mfma_i32_16x16x32_i8 v[136:139], a[54:55], v[102:103], v[136:139]// 00000000BE1C: D3D70088 0E22CD36
	v_mfma_i32_16x16x32_i8 v[140:143], a[56:57], v[96:97], 0   // 00000000BE24: D3D7008C 0A02C138
	v_mfma_i32_16x16x32_i8 v[140:143], a[58:59], v[98:99], v[140:143]// 00000000BE2C: D3D7008C 0E32C53A
	buffer_load_dwordx4 a[12:15], v26, s[16:19], 0 offen offset:1024// 00000000BE34: E05C1400 80840C1A
	v_mfma_i32_16x16x32_i8 v[140:143], a[60:61], v[100:101], v[140:143]// 00000000BE3C: D3D7008C 0E32C93C
	v_mfma_i32_16x16x32_i8 v[140:143], a[62:63], v[102:103], v[140:143]// 00000000BE44: D3D7008C 0E32CD3E
	v_mfma_i32_16x16x32_i8 v[144:147], a[32:33], v[104:105], 0 // 00000000BE4C: D3D70090 0A02D120
	v_mfma_i32_16x16x32_i8 v[144:147], a[34:35], v[106:107], v[144:147]// 00000000BE54: D3D70090 0E42D522
	v_mfma_i32_16x16x32_i8 v[144:147], a[36:37], v[108:109], v[144:147]// 00000000BE5C: D3D70090 0E42D924
	v_mfma_i32_16x16x32_i8 v[144:147], a[38:39], v[110:111], v[144:147]// 00000000BE64: D3D70090 0E42DD26
	v_mfma_i32_16x16x32_i8 v[148:151], a[40:41], v[104:105], 0 // 00000000BE6C: D3D70094 0A02D128
	v_mfma_i32_16x16x32_i8 v[148:151], a[42:43], v[106:107], v[148:151]// 00000000BE74: D3D70094 0E52D52A
	v_mfma_i32_16x16x32_i8 v[148:151], a[44:45], v[108:109], v[148:151]// 00000000BE7C: D3D70094 0E52D92C
	v_mfma_i32_16x16x32_i8 v[148:151], a[46:47], v[110:111], v[148:151]// 00000000BE84: D3D70094 0E52DD2E
	v_mfma_i32_16x16x32_i8 v[152:155], a[48:49], v[104:105], 0 // 00000000BE8C: D3D70098 0A02D130
	v_mfma_i32_16x16x32_i8 v[152:155], a[50:51], v[106:107], v[152:155]// 00000000BE94: D3D70098 0E62D532
	v_mfma_i32_16x16x32_i8 v[152:155], a[52:53], v[108:109], v[152:155]// 00000000BE9C: D3D70098 0E62D934
	v_mfma_i32_16x16x32_i8 v[152:155], a[54:55], v[110:111], v[152:155]// 00000000BEA4: D3D70098 0E62DD36
	v_mfma_i32_16x16x32_i8 v[156:159], a[56:57], v[104:105], 0 // 00000000BEAC: D3D7009C 0A02D138
	v_mfma_i32_16x16x32_i8 v[156:159], a[58:59], v[106:107], v[156:159]// 00000000BEB4: D3D7009C 0E72D53A
	v_mfma_i32_16x16x32_i8 v[156:159], a[60:61], v[108:109], v[156:159]// 00000000BEBC: D3D7009C 0E72D93C
	v_mfma_i32_16x16x32_i8 v[156:159], a[62:63], v[110:111], v[156:159]// 00000000BEC4: D3D7009C 0E72DD3E
	buffer_load_dword v52, v2, s[32:35], 0 offen               // 00000000BECC: E0501000 80083402
	v_mov_b32_dpp v41, v53 row_shr:4 row_mask:0xf bank_mask:0xf// 00000000BED4: 7E5202FA FF011435
	v_mov_b32_dpp v42, v53 row_shl:4 row_mask:0xf bank_mask:0xf// 00000000BEDC: 7E5402FA FF010435
	v_cndmask_b32_e64 v248, v53, v41, s[44:45]                 // 00000000BEE4: D10000F8 00B25335
	v_cndmask_b32_e64 v249, v42, v53, s[44:45]                 // 00000000BEEC: D10000F9 00B26B2A
	v_mov_b32_dpp v41, v248 row_shr:8 row_mask:0xf bank_mask:0xf// 00000000BEF4: 7E5202FA FF0118F8
	v_mov_b32_dpp v42, v248 row_shl:8 row_mask:0xf bank_mask:0xf// 00000000BEFC: 7E5402FA FF0108F8
	v_mov_b32_dpp v43, v249 row_shr:8 row_mask:0xf bank_mask:0xf// 00000000BF04: 7E5602FA FF0118F9
	v_mov_b32_dpp v44, v249 row_shl:8 row_mask:0xf bank_mask:0xf// 00000000BF0C: 7E5802FA FF0108F9
	v_mov_b32_e32 v45, v248                                    // 00000000BF14: 7E5A03F8
	v_mov_b32_e32 v46, v249                                    // 00000000BF18: 7E5C03F9
	v_cndmask_b32_e64 v248, v45, v41, s[42:43]                 // 00000000BF1C: D10000F8 00AA532D
	v_cndmask_b32_e64 v250, v45, v42, s[78:79]                 // 00000000BF24: D10000FA 013A552D
	v_cndmask_b32_e64 v249, v46, v43, s[42:43]                 // 00000000BF2C: D10000F9 00AA572E
	v_cndmask_b32_e64 v251, v46, v44, s[78:79]                 // 00000000BF34: D10000FB 013A592E
	v_mov_b32_dpp v41, v73 row_shr:4 row_mask:0xf bank_mask:0xf// 00000000BF3C: 7E5202FA FF011449
	v_mov_b32_dpp v42, v73 row_shl:4 row_mask:0xf bank_mask:0xf// 00000000BF44: 7E5402FA FF010449
	v_cndmask_b32_e64 v252, v73, v41, s[44:45]                 // 00000000BF4C: D10000FC 00B25349
	v_cndmask_b32_e64 v253, v42, v73, s[44:45]                 // 00000000BF54: D10000FD 00B2932A
	v_mov_b32_dpp v41, v252 row_shr:8 row_mask:0xf bank_mask:0xf// 00000000BF5C: 7E5202FA FF0118FC
	v_mov_b32_dpp v42, v252 row_shl:8 row_mask:0xf bank_mask:0xf// 00000000BF64: 7E5402FA FF0108FC
	v_mov_b32_dpp v43, v253 row_shr:8 row_mask:0xf bank_mask:0xf// 00000000BF6C: 7E5602FA FF0118FD
	v_mov_b32_dpp v44, v253 row_shl:8 row_mask:0xf bank_mask:0xf// 00000000BF74: 7E5802FA FF0108FD
	v_mov_b32_e32 v45, v252                                    // 00000000BF7C: 7E5A03FC
	v_mov_b32_e32 v46, v253                                    // 00000000BF80: 7E5C03FD
	v_cndmask_b32_e64 v252, v45, v41, s[42:43]                 // 00000000BF84: D10000FC 00AA532D
	v_cndmask_b32_e64 v254, v45, v42, s[78:79]                 // 00000000BF8C: D10000FE 013A552D
	v_cndmask_b32_e64 v253, v46, v43, s[42:43]                 // 00000000BF94: D10000FD 00AA572E
	v_cndmask_b32_e64 v255, v46, v44, s[78:79]                 // 00000000BF9C: D10000FF 013A592E
	buffer_load_dword v72, v70, s[36:39], 0 offen              // 00000000BFA4: E0501000 80094846
	v_cvt_f32_i32_e32 v128, v128                               // 00000000BFAC: 7F000B80
	v_cvt_f32_i32_e32 v129, v129                               // 00000000BFB0: 7F020B81
	v_cvt_f32_i32_e32 v130, v130                               // 00000000BFB4: 7F040B82
	v_cvt_f32_i32_e32 v131, v131                               // 00000000BFB8: 7F060B83
	v_cvt_f32_i32_e32 v132, v132                               // 00000000BFBC: 7F080B84
	v_cvt_f32_i32_e32 v133, v133                               // 00000000BFC0: 7F0A0B85
	v_cvt_f32_i32_e32 v134, v134                               // 00000000BFC4: 7F0C0B86
	v_cvt_f32_i32_e32 v135, v135                               // 00000000BFC8: 7F0E0B87
	v_cvt_f32_i32_e32 v136, v136                               // 00000000BFCC: 7F100B88
	v_cvt_f32_i32_e32 v137, v137                               // 00000000BFD0: 7F120B89
	v_cvt_f32_i32_e32 v138, v138                               // 00000000BFD4: 7F140B8A
	v_cvt_f32_i32_e32 v139, v139                               // 00000000BFD8: 7F160B8B
	v_cvt_f32_i32_e32 v140, v140                               // 00000000BFDC: 7F180B8C
	v_cvt_f32_i32_e32 v141, v141                               // 00000000BFE0: 7F1A0B8D
	v_cvt_f32_i32_e32 v142, v142                               // 00000000BFE4: 7F1C0B8E
	v_cvt_f32_i32_e32 v143, v143                               // 00000000BFE8: 7F1E0B8F
	v_mul_f32_e32 v128, v54, v128                              // 00000000BFEC: 0B010136
	v_mul_f32_e32 v129, v54, v129                              // 00000000BFF0: 0B030336
	v_mul_f32_e32 v130, v54, v130                              // 00000000BFF4: 0B050536
	v_mul_f32_e32 v131, v54, v131                              // 00000000BFF8: 0B070736
	v_mul_f32_e32 v132, v54, v132                              // 00000000BFFC: 0B090936
	v_mul_f32_e32 v133, v54, v133                              // 00000000C000: 0B0B0B36
	v_mul_f32_e32 v134, v54, v134                              // 00000000C004: 0B0D0D36
	v_mul_f32_e32 v135, v54, v135                              // 00000000C008: 0B0F0F36
	v_mul_f32_e32 v136, v54, v136                              // 00000000C00C: 0B111136
	v_mul_f32_e32 v137, v54, v137                              // 00000000C010: 0B131336
	v_mul_f32_e32 v138, v54, v138                              // 00000000C014: 0B151536
	v_mul_f32_e32 v139, v54, v139                              // 00000000C018: 0B171736
	v_mul_f32_e32 v140, v54, v140                              // 00000000C01C: 0B191936
	v_mul_f32_e32 v141, v54, v141                              // 00000000C020: 0B1B1B36
	v_mul_f32_e32 v142, v54, v142                              // 00000000C024: 0B1D1D36
	v_mul_f32_e32 v143, v54, v143                              // 00000000C028: 0B1F1F36
	buffer_load_dwordx4 a[16:19], v27, s[16:19], 0 offen       // 00000000C02C: E05C1000 8084101B
	v_mul_f32_dpp v128, v248, v128 quad_perm:[0,0,0,0] row_mask:0xf bank_mask:0xf// 00000000C034: 0B0100FA FF0000F8
	v_mul_f32_dpp v129, v248, v129 quad_perm:[1,1,1,1] row_mask:0xf bank_mask:0xf// 00000000C03C: 0B0302FA FF0055F8
	v_mul_f32_dpp v130, v248, v130 quad_perm:[2,2,2,2] row_mask:0xf bank_mask:0xf// 00000000C044: 0B0504FA FF00AAF8
	v_mul_f32_dpp v131, v248, v131 quad_perm:[3,3,3,3] row_mask:0xf bank_mask:0xf// 00000000C04C: 0B0706FA FF00FFF8
	v_mul_f32_dpp v132, v249, v132 quad_perm:[0,0,0,0] row_mask:0xf bank_mask:0xf// 00000000C054: 0B0908FA FF0000F9
	v_mul_f32_dpp v133, v249, v133 quad_perm:[1,1,1,1] row_mask:0xf bank_mask:0xf// 00000000C05C: 0B0B0AFA FF0055F9
	v_mul_f32_dpp v134, v249, v134 quad_perm:[2,2,2,2] row_mask:0xf bank_mask:0xf// 00000000C064: 0B0D0CFA FF00AAF9
	v_mul_f32_dpp v135, v249, v135 quad_perm:[3,3,3,3] row_mask:0xf bank_mask:0xf// 00000000C06C: 0B0F0EFA FF00FFF9
	v_mul_f32_dpp v136, v250, v136 quad_perm:[0,0,0,0] row_mask:0xf bank_mask:0xf// 00000000C074: 0B1110FA FF0000FA
	v_mul_f32_dpp v137, v250, v137 quad_perm:[1,1,1,1] row_mask:0xf bank_mask:0xf// 00000000C07C: 0B1312FA FF0055FA
	v_mul_f32_dpp v138, v250, v138 quad_perm:[2,2,2,2] row_mask:0xf bank_mask:0xf// 00000000C084: 0B1514FA FF00AAFA
	v_mul_f32_dpp v139, v250, v139 quad_perm:[3,3,3,3] row_mask:0xf bank_mask:0xf// 00000000C08C: 0B1716FA FF00FFFA
	v_mul_f32_dpp v140, v251, v140 quad_perm:[0,0,0,0] row_mask:0xf bank_mask:0xf// 00000000C094: 0B1918FA FF0000FB
	v_mul_f32_dpp v141, v251, v141 quad_perm:[1,1,1,1] row_mask:0xf bank_mask:0xf// 00000000C09C: 0B1B1AFA FF0055FB
	v_mul_f32_dpp v142, v251, v142 quad_perm:[2,2,2,2] row_mask:0xf bank_mask:0xf// 00000000C0A4: 0B1D1CFA FF00AAFB
	v_mul_f32_dpp v143, v251, v143 quad_perm:[3,3,3,3] row_mask:0xf bank_mask:0xf// 00000000C0AC: 0B1F1EFA FF00FFFB
	buffer_load_dwordx4 a[20:23], v27, s[16:19], 0 offen offset:1024// 00000000C0B4: E05C1400 8084141B
	v_mov_b32_e32 v62, v128                                    // 00000000C0BC: 7E7C0380
	v_max3_f32 v62, v128, v129, v62                            // 00000000C0C0: D1D3003E 04FB0380
	v_max3_f32 v62, v130, v131, v62                            // 00000000C0C8: D1D3003E 04FB0782
	v_max3_f32 v62, v132, v133, v62                            // 00000000C0D0: D1D3003E 04FB0B84
	v_max3_f32 v62, v134, v135, v62                            // 00000000C0D8: D1D3003E 04FB0F86
	v_max3_f32 v62, v136, v137, v62                            // 00000000C0E0: D1D3003E 04FB1388
	v_max3_f32 v62, v138, v139, v62                            // 00000000C0E8: D1D3003E 04FB178A
	v_max3_f32 v62, v140, v141, v62                            // 00000000C0F0: D1D3003E 04FB1B8C
	v_max3_f32 v62, v142, v143, v62                            // 00000000C0F8: D1D3003E 04FB1F8E
	ds_write_b32 v11, v62 offset:16896                         // 00000000C100: D81A4200 00003E0B
	buffer_load_dwordx4 a[24:27], v28, s[16:19], 0 offen       // 00000000C108: E05C1000 8084181C
	v_mul_u32_u24_dpp v41, v19, v68 row_newbcast:1 row_mask:0xf bank_mask:0xf// 00000000C110: 105288FA FF015113
	v_mul_u32_u24_dpp v42, v19, v68 row_newbcast:5 row_mask:0xf bank_mask:0xf// 00000000C118: 105488FA FF015513
	v_mul_u32_u24_dpp v43, v19, v68 row_newbcast:9 row_mask:0xf bank_mask:0xf// 00000000C120: 105688FA FF015913
	v_mul_u32_u24_dpp v44, v19, v68 row_newbcast:13 row_mask:0xf bank_mask:0xf// 00000000C128: 105888FA FF015D13
	v_add_u32_e32 v33, v41, v7                                 // 00000000C130: 68420F29
	v_add_u32_e32 v34, v42, v7                                 // 00000000C134: 68440F2A
	v_add_u32_e32 v35, v43, v7                                 // 00000000C138: 68460F2B
	v_add_u32_e32 v36, v44, v7                                 // 00000000C13C: 68480F2C
	v_mul_f32_e32 v224, v63, v224                              // 00000000C140: 0BC1C13F
	v_mul_f32_e32 v225, v63, v225                              // 00000000C144: 0BC3C33F
	v_mul_f32_e32 v226, v63, v226                              // 00000000C148: 0BC5C53F
	v_mul_f32_e32 v227, v63, v227                              // 00000000C14C: 0BC7C73F
	v_mul_f32_e32 v228, v63, v228                              // 00000000C150: 0BC9C93F
	v_mul_f32_e32 v229, v63, v229                              // 00000000C154: 0BCBCB3F
	v_mul_f32_e32 v230, v63, v230                              // 00000000C158: 0BCDCD3F
	v_mul_f32_e32 v231, v63, v231                              // 00000000C15C: 0BCFCF3F
	s_waitcnt lgkmcnt(0)                                       // 00000000C160: BF8CC07F
	s_barrier                                                  // 00000000C164: BF8A0000
	ds_read_b32 v80, v10 offset:16896                          // 00000000C168: D86C4200 5000000A
	ds_read_b32 v81, v10 offset:16960                          // 00000000C170: D86C4240 5100000A
	ds_read_b32 v82, v10 offset:17024                          // 00000000C178: D86C4280 5200000A
	ds_read_b32 v83, v10 offset:17088                          // 00000000C180: D86C42C0 5300000A
	ds_read_b32 v84, v10 offset:17152                          // 00000000C188: D86C4300 5400000A
	ds_read_b32 v85, v10 offset:17216                          // 00000000C190: D86C4340 5500000A
	ds_read_b32 v86, v10 offset:17280                          // 00000000C198: D86C4380 5600000A
	ds_read_b32 v87, v10 offset:17344                          // 00000000C1A0: D86C43C0 5700000A
	ds_read_b32 v88, v10 offset:17408                          // 00000000C1A8: D86C4400 5800000A
	ds_read_b32 v89, v10 offset:17472                          // 00000000C1B0: D86C4440 5900000A
	ds_read_b32 v90, v10 offset:17536                          // 00000000C1B8: D86C4480 5A00000A
	ds_read_b32 v91, v10 offset:17600                          // 00000000C1C0: D86C44C0 5B00000A
	ds_read_b32 v92, v10 offset:17664                          // 00000000C1C8: D86C4500 5C00000A
	ds_read_b32 v93, v10 offset:17728                          // 00000000C1D0: D86C4540 5D00000A
	ds_read_b32 v94, v10 offset:17792                          // 00000000C1D8: D86C4580 5E00000A
	ds_read_b32 v95, v10 offset:17856                          // 00000000C1E0: D86C45C0 5F00000A
	buffer_load_dwordx4 a[28:31], v28, s[16:19], 0 offen offset:1024// 00000000C1E8: E05C1400 80841C1C
	v_cvt_f32_i32_e32 v192, v192                               // 00000000C1F0: 7F800BC0
	v_cvt_f32_i32_e32 v193, v193                               // 00000000C1F4: 7F820BC1
	v_cvt_f32_i32_e32 v194, v194                               // 00000000C1F8: 7F840BC2
	v_cvt_f32_i32_e32 v195, v195                               // 00000000C1FC: 7F860BC3
	v_cvt_f32_i32_e32 v196, v196                               // 00000000C200: 7F880BC4
	v_cvt_f32_i32_e32 v197, v197                               // 00000000C204: 7F8A0BC5
	v_cvt_f32_i32_e32 v198, v198                               // 00000000C208: 7F8C0BC6
	v_cvt_f32_i32_e32 v199, v199                               // 00000000C20C: 7F8E0BC7
	v_mul_f32_e32 v192, v58, v192                              // 00000000C210: 0B81813A
	v_mul_f32_e32 v193, v58, v193                              // 00000000C214: 0B83833A
	v_mul_f32_e32 v194, v58, v194                              // 00000000C218: 0B85853A
	v_mul_f32_e32 v195, v58, v195                              // 00000000C21C: 0B87873A
	v_mul_f32_e32 v196, v58, v196                              // 00000000C220: 0B89893A
	v_mul_f32_e32 v197, v58, v197                              // 00000000C224: 0B8B8B3A
	v_mul_f32_e32 v198, v58, v198                              // 00000000C228: 0B8D8D3A
	v_mul_f32_e32 v199, v58, v199                              // 00000000C22C: 0B8F8F3A
	s_waitcnt lgkmcnt(0)                                       // 00000000C230: BF8CC07F
	v_max3_f32 v62, v80, v81, v62                              // 00000000C234: D1D3003E 04FAA350
	v_max3_f32 v62, v82, v83, v62                              // 00000000C23C: D1D3003E 04FAA752
	v_max3_f32 v62, v84, v85, v62                              // 00000000C244: D1D3003E 04FAAB54
	v_max3_f32 v62, v86, v87, v62                              // 00000000C24C: D1D3003E 04FAAF56
	v_max3_f32 v62, v88, v89, v62                              // 00000000C254: D1D3003E 04FAB358
	v_max3_f32 v62, v90, v91, v62                              // 00000000C25C: D1D3003E 04FAB75A
	v_max3_f32 v62, v92, v93, v62                              // 00000000C264: D1D3003E 04FABB5C
	v_max3_f32 v62, v94, v95, v62                              // 00000000C26C: D1D3003E 04FABF5E
	buffer_load_dwordx4 a[64:67], v33, s[20:23], 0 offen       // 00000000C274: E05C1000 80854021
	v_mov_b32_e32 v41, 0xff800000                              // 00000000C27C: 7E5202FF FF800000
	v_cmp_eq_u32_e64 s[40:41], v41, v14                        // 00000000C284: D0CA0028 00021D29
	s_nop 1                                                    // 00000000C28C: BF800001
	v_max_f32_e32 v18, v62, v14                                // 00000000C290: 16241D3E
	v_mul_f32_e32 v67, s64, v18                                // 00000000C294: 0A862440
	v_fma_f32 v128, v128, s64, -v67                            // 00000000C298: D1CB0080 850C8180
	v_fma_f32 v129, v129, s64, -v67                            // 00000000C2A0: D1CB0081 850C8181
	v_fma_f32 v130, v130, s64, -v67                            // 00000000C2A8: D1CB0082 850C8182
	v_fma_f32 v131, v131, s64, -v67                            // 00000000C2B0: D1CB0083 850C8183
	v_fma_f32 v132, v132, s64, -v67                            // 00000000C2B8: D1CB0084 850C8184
	v_fma_f32 v133, v133, s64, -v67                            // 00000000C2C0: D1CB0085 850C8185
	v_fma_f32 v134, v134, s64, -v67                            // 00000000C2C8: D1CB0086 850C8186
	v_fma_f32 v135, v135, s64, -v67                            // 00000000C2D0: D1CB0087 850C8187
	v_fma_f32 v136, v136, s64, -v67                            // 00000000C2D8: D1CB0088 850C8188
	v_fma_f32 v137, v137, s64, -v67                            // 00000000C2E0: D1CB0089 850C8189
	v_fma_f32 v138, v138, s64, -v67                            // 00000000C2E8: D1CB008A 850C818A
	v_fma_f32 v139, v139, s64, -v67                            // 00000000C2F0: D1CB008B 850C818B
	v_fma_f32 v140, v140, s64, -v67                            // 00000000C2F8: D1CB008C 850C818C
	v_fma_f32 v141, v141, s64, -v67                            // 00000000C300: D1CB008D 850C818D
	v_fma_f32 v142, v142, s64, -v67                            // 00000000C308: D1CB008E 850C818E
	v_fma_f32 v143, v143, s64, -v67                            // 00000000C310: D1CB008F 850C818F
	buffer_load_dwordx4 a[68:71], v34, s[20:23], 0 offen       // 00000000C318: E05C1000 80854422
	v_exp_f32_e32 v128, v128                                   // 00000000C320: 7F004180
	v_exp_f32_e32 v129, v129                                   // 00000000C324: 7F024181
	v_exp_f32_e32 v130, v130                                   // 00000000C328: 7F044182
	v_exp_f32_e32 v131, v131                                   // 00000000C32C: 7F064183
	v_exp_f32_e32 v132, v132                                   // 00000000C330: 7F084184
	v_exp_f32_e32 v133, v133                                   // 00000000C334: 7F0A4185
	v_exp_f32_e32 v134, v134                                   // 00000000C338: 7F0C4186
	v_exp_f32_e32 v135, v135                                   // 00000000C33C: 7F0E4187
	v_exp_f32_e32 v136, v136                                   // 00000000C340: 7F104188
	v_exp_f32_e32 v137, v137                                   // 00000000C344: 7F124189
	v_exp_f32_e32 v138, v138                                   // 00000000C348: 7F14418A
	v_exp_f32_e32 v139, v139                                   // 00000000C34C: 7F16418B
	v_exp_f32_e32 v140, v140                                   // 00000000C350: 7F18418C
	v_exp_f32_e32 v141, v141                                   // 00000000C354: 7F1A418D
	v_exp_f32_e32 v142, v142                                   // 00000000C358: 7F1C418E
	v_exp_f32_e32 v143, v143                                   // 00000000C35C: 7F1E418F
	buffer_load_dwordx4 a[72:75], v35, s[20:23], 0 offen       // 00000000C360: E05C1000 80854823
	v_mul_f32_dpp v240, v252, v128 quad_perm:[0,0,0,0] row_mask:0xf bank_mask:0xf// 00000000C368: 0BE100FA FF0000FC
	v_mul_f32_dpp v241, v252, v129 quad_perm:[1,1,1,1] row_mask:0xf bank_mask:0xf// 00000000C370: 0BE302FA FF0055FC
	v_mul_f32_dpp v242, v252, v130 quad_perm:[2,2,2,2] row_mask:0xf bank_mask:0xf// 00000000C378: 0BE504FA FF00AAFC
	v_mul_f32_dpp v243, v252, v131 quad_perm:[3,3,3,3] row_mask:0xf bank_mask:0xf// 00000000C380: 0BE706FA FF00FFFC
	v_mul_f32_dpp v244, v253, v132 quad_perm:[0,0,0,0] row_mask:0xf bank_mask:0xf// 00000000C388: 0BE908FA FF0000FD
	v_mul_f32_dpp v245, v253, v133 quad_perm:[1,1,1,1] row_mask:0xf bank_mask:0xf// 00000000C390: 0BEB0AFA FF0055FD
	v_mul_f32_dpp v246, v253, v134 quad_perm:[2,2,2,2] row_mask:0xf bank_mask:0xf// 00000000C398: 0BED0CFA FF00AAFD
	v_mul_f32_dpp v247, v253, v135 quad_perm:[3,3,3,3] row_mask:0xf bank_mask:0xf// 00000000C3A0: 0BEF0EFA FF00FFFD
	v_mul_f32_dpp v248, v254, v136 quad_perm:[0,0,0,0] row_mask:0xf bank_mask:0xf// 00000000C3A8: 0BF110FA FF0000FE
	v_mul_f32_dpp v249, v254, v137 quad_perm:[1,1,1,1] row_mask:0xf bank_mask:0xf// 00000000C3B0: 0BF312FA FF0055FE
	v_mul_f32_dpp v250, v254, v138 quad_perm:[2,2,2,2] row_mask:0xf bank_mask:0xf// 00000000C3B8: 0BF514FA FF00AAFE
	v_mul_f32_dpp v251, v254, v139 quad_perm:[3,3,3,3] row_mask:0xf bank_mask:0xf// 00000000C3C0: 0BF716FA FF00FFFE
	v_mul_f32_dpp v252, v255, v140 quad_perm:[0,0,0,0] row_mask:0xf bank_mask:0xf// 00000000C3C8: 0BF918FA FF0000FF
	v_mul_f32_dpp v253, v255, v141 quad_perm:[1,1,1,1] row_mask:0xf bank_mask:0xf// 00000000C3D0: 0BFB1AFA FF0055FF
	v_mul_f32_dpp v254, v255, v142 quad_perm:[2,2,2,2] row_mask:0xf bank_mask:0xf// 00000000C3D8: 0BFD1CFA FF00AAFF
	v_mul_f32_dpp v255, v255, v143 quad_perm:[3,3,3,3] row_mask:0xf bank_mask:0xf// 00000000C3E0: 0BFF1EFA FF00FFFF
	v_mov_b32_e32 v62, 0x358637bd                              // 00000000C3E8: 7E7C02FF 358637BD
	v_max3_f32 v62, |v240|, |v241|, v62                        // 00000000C3F0: D1D3033E 04FBE3F0
	v_max3_f32 v62, |v242|, |v243|, v62                        // 00000000C3F8: D1D3033E 04FBE7F2
	v_max3_f32 v62, |v244|, |v245|, v62                        // 00000000C400: D1D3033E 04FBEBF4
	v_max3_f32 v62, |v246|, |v247|, v62                        // 00000000C408: D1D3033E 04FBEFF6
	v_max3_f32 v62, |v248|, |v249|, v62                        // 00000000C410: D1D3033E 04FBF3F8
	v_max3_f32 v62, |v250|, |v251|, v62                        // 00000000C418: D1D3033E 04FBF7FA
	v_max3_f32 v62, |v252|, |v253|, v62                        // 00000000C420: D1D3033E 04FBFBFC
	v_max3_f32 v62, |v254|, |v255|, v62                        // 00000000C428: D1D3033E 04FBFFFE
	buffer_load_dwordx4 a[76:79], v36, s[20:23], 0 offen       // 00000000C430: E05C1000 80854C24
	ds_write_b32 v11, v62 offset:20992                         // 00000000C438: D81A5200 00003E0B
	v_sub_f32_e32 v63, v14, v18                                // 00000000C440: 047E250E
	v_cndmask_b32_e64 v63, v63, 0, s[40:41]                    // 00000000C444: D100003F 00A1013F
	v_mov_b32_e32 v14, v18                                     // 00000000C44C: 7E1C0312
	v_mul_f32_e32 v63, s64, v63                                // 00000000C450: 0A7E7E40
	v_exp_f32_e32 v63, v63                                     // 00000000C454: 7E7E413F
	s_waitcnt lgkmcnt(0)                                       // 00000000C458: BF8CC07F
	s_barrier                                                  // 00000000C45C: BF8A0000
	ds_read_b32 v80, v10 offset:20992                          // 00000000C460: D86C5200 5000000A
	ds_read_b32 v81, v10 offset:21056                          // 00000000C468: D86C5240 5100000A
	ds_read_b32 v82, v10 offset:21120                          // 00000000C470: D86C5280 5200000A
	ds_read_b32 v83, v10 offset:21184                          // 00000000C478: D86C52C0 5300000A
	ds_read_b32 v84, v10 offset:21248                          // 00000000C480: D86C5300 5400000A
	ds_read_b32 v85, v10 offset:21312                          // 00000000C488: D86C5340 5500000A
	ds_read_b32 v86, v10 offset:21376                          // 00000000C490: D86C5380 5600000A
	ds_read_b32 v87, v10 offset:21440                          // 00000000C498: D86C53C0 5700000A
	ds_read_b32 v88, v10 offset:21504                          // 00000000C4A0: D86C5400 5800000A
	ds_read_b32 v89, v10 offset:21568                          // 00000000C4A8: D86C5440 5900000A
	ds_read_b32 v90, v10 offset:21632                          // 00000000C4B0: D86C5480 5A00000A
	ds_read_b32 v91, v10 offset:21696                          // 00000000C4B8: D86C54C0 5B00000A
	ds_read_b32 v92, v10 offset:21760                          // 00000000C4C0: D86C5500 5C00000A
	ds_read_b32 v93, v10 offset:21824                          // 00000000C4C8: D86C5540 5D00000A
	ds_read_b32 v94, v10 offset:21888                          // 00000000C4D0: D86C5580 5E00000A
	ds_read_b32 v95, v10 offset:21952                          // 00000000C4D8: D86C55C0 5F00000A
	v_mul_f32_e32 v47, v63, v47                                // 00000000C4E0: 0A5E5F3F
	v_mov_b32_e32 v18, v128                                    // 00000000C4E4: 7E240380
	v_add_f32_e32 v18, v129, v18                               // 00000000C4E8: 02242581
	v_add_f32_e32 v18, v130, v18                               // 00000000C4EC: 02242582
	v_add_f32_e32 v18, v131, v18                               // 00000000C4F0: 02242583
	v_add_f32_e32 v18, v132, v18                               // 00000000C4F4: 02242584
	v_add_f32_e32 v18, v133, v18                               // 00000000C4F8: 02242585
	v_add_f32_e32 v18, v134, v18                               // 00000000C4FC: 02242586
	v_add_f32_e32 v18, v135, v18                               // 00000000C500: 02242587
	v_add_f32_e32 v18, v136, v18                               // 00000000C504: 02242588
	v_add_f32_e32 v18, v137, v18                               // 00000000C508: 02242589
	v_add_f32_e32 v18, v138, v18                               // 00000000C50C: 0224258A
	v_add_f32_e32 v18, v139, v18                               // 00000000C510: 0224258B
	v_add_f32_e32 v18, v140, v18                               // 00000000C514: 0224258C
	v_add_f32_e32 v18, v141, v18                               // 00000000C518: 0224258D
	v_add_f32_e32 v18, v142, v18                               // 00000000C51C: 0224258E
	v_add_f32_e32 v18, v143, v18                               // 00000000C520: 0224258F
	v_add_f32_e32 v47, v18, v47                                // 00000000C524: 025E5F12
	s_waitcnt lgkmcnt(0)                                       // 00000000C528: BF8CC07F
	v_max3_f32 v62, |v80|, |v81|, v62                          // 00000000C52C: D1D3033E 04FAA350
	v_max3_f32 v62, |v82|, |v83|, v62                          // 00000000C534: D1D3033E 04FAA752
	v_max3_f32 v62, |v84|, |v85|, v62                          // 00000000C53C: D1D3033E 04FAAB54
	v_max3_f32 v62, |v86|, |v87|, v62                          // 00000000C544: D1D3033E 04FAAF56
	v_max3_f32 v62, |v88|, |v89|, v62                          // 00000000C54C: D1D3033E 04FAB358
	v_max3_f32 v62, |v90|, |v91|, v62                          // 00000000C554: D1D3033E 04FAB75A
	v_max3_f32 v62, |v92|, |v93|, v62                          // 00000000C55C: D1D3033E 04FABB5C
	v_max3_f32 v62, |v94|, |v95|, v62                          // 00000000C564: D1D3033E 04FABF5E
	s_nop 2                                                    // 00000000C56C: BF800002
	v_rcp_f32_e32 v62, v62                                     // 00000000C570: 7E7C453E
	s_nop 1                                                    // 00000000C574: BF800001
	v_mul_f32_e32 v62, 0x42fe0000, v62                         // 00000000C578: 0A7C7CFF 42FE0000
	v_mul_f32_e32 v128, v62, v240                              // 00000000C580: 0B01E13E
	v_mul_f32_e32 v129, v62, v241                              // 00000000C584: 0B03E33E
	v_mul_f32_e32 v130, v62, v242                              // 00000000C588: 0B05E53E
	v_mul_f32_e32 v131, v62, v243                              // 00000000C58C: 0B07E73E
	v_mul_f32_e32 v132, v62, v244                              // 00000000C590: 0B09E93E
	v_mul_f32_e32 v133, v62, v245                              // 00000000C594: 0B0BEB3E
	v_mul_f32_e32 v134, v62, v246                              // 00000000C598: 0B0DED3E
	v_mul_f32_e32 v135, v62, v247                              // 00000000C59C: 0B0FEF3E
	v_mul_f32_e32 v136, v62, v248                              // 00000000C5A0: 0B11F13E
	v_mul_f32_e32 v137, v62, v249                              // 00000000C5A4: 0B13F33E
	v_mul_f32_e32 v138, v62, v250                              // 00000000C5A8: 0B15F53E
	v_mul_f32_e32 v139, v62, v251                              // 00000000C5AC: 0B17F73E
	v_mul_f32_e32 v140, v62, v252                              // 00000000C5B0: 0B19F93E
	v_mul_f32_e32 v141, v62, v253                              // 00000000C5B4: 0B1BFB3E
	v_mul_f32_e32 v142, v62, v254                              // 00000000C5B8: 0B1DFD3E
	v_mul_f32_e32 v143, v62, v255                              // 00000000C5BC: 0B1FFF3E
	v_cvt_i32_f32_e32 v128, v128                               // 00000000C5C0: 7F001180
	v_cvt_i32_f32_e32 v129, v129                               // 00000000C5C4: 7F021181
	v_cvt_i32_f32_e32 v130, v130                               // 00000000C5C8: 7F041182
	v_cvt_i32_f32_e32 v131, v131                               // 00000000C5CC: 7F061183
	v_cvt_i32_f32_e32 v132, v132                               // 00000000C5D0: 7F081184
	v_cvt_i32_f32_e32 v133, v133                               // 00000000C5D4: 7F0A1185
	v_cvt_i32_f32_e32 v134, v134                               // 00000000C5D8: 7F0C1186
	v_cvt_i32_f32_e32 v135, v135                               // 00000000C5DC: 7F0E1187
	v_cvt_i32_f32_e32 v136, v136                               // 00000000C5E0: 7F101188
	v_cvt_i32_f32_e32 v137, v137                               // 00000000C5E4: 7F121189
	v_cvt_i32_f32_e32 v138, v138                               // 00000000C5E8: 7F14118A
	v_cvt_i32_f32_e32 v139, v139                               // 00000000C5EC: 7F16118B
	v_cvt_i32_f32_e32 v140, v140                               // 00000000C5F0: 7F18118C
	v_cvt_i32_f32_e32 v141, v141                               // 00000000C5F4: 7F1A118D
	v_cvt_i32_f32_e32 v142, v142                               // 00000000C5F8: 7F1C118E
	v_cvt_i32_f32_e32 v143, v143                               // 00000000C5FC: 7F1E118F
	v_perm_b32 v128, v129, v128, s53                           // 00000000C600: D1ED0080 00D70181
	v_perm_b32 v128, v130, v128, s54                           // 00000000C608: D1ED0080 00DB0182
	v_perm_b32 v128, v131, v128, s55                           // 00000000C610: D1ED0080 00DF0183
	v_perm_b32 v129, v133, v132, s53                           // 00000000C618: D1ED0081 00D70985
	v_perm_b32 v129, v134, v129, s54                           // 00000000C620: D1ED0081 00DB0386
	v_perm_b32 v129, v135, v129, s55                           // 00000000C628: D1ED0081 00DF0387
	v_perm_b32 v130, v137, v136, s53                           // 00000000C630: D1ED0082 00D71189
	v_perm_b32 v130, v138, v130, s54                           // 00000000C638: D1ED0082 00DB058A
	v_perm_b32 v130, v139, v130, s55                           // 00000000C640: D1ED0082 00DF058B
	v_perm_b32 v131, v141, v140, s53                           // 00000000C648: D1ED0083 00D7198D
	v_perm_b32 v131, v142, v131, s54                           // 00000000C650: D1ED0083 00DB078E
	v_perm_b32 v131, v143, v131, s55                           // 00000000C658: D1ED0083 00DF078F
	ds_write_b32 v13, v128 offset:25088                        // 00000000C660: D81A6200 0000800D
	ds_write_b32 v13, v129 offset:26112                        // 00000000C668: D81A6600 0000810D
	ds_write_b32 v13, v130 offset:27136                        // 00000000C670: D81A6A00 0000820D
	ds_write_b32 v13, v131 offset:28160                        // 00000000C678: D81A6E00 0000830D
	v_add_f32_e32 v224, v224, v192                             // 00000000C680: 03C181E0
	v_add_f32_e32 v225, v225, v193                             // 00000000C684: 03C383E1
	v_add_f32_e32 v226, v226, v194                             // 00000000C688: 03C585E2
	v_add_f32_e32 v227, v227, v195                             // 00000000C68C: 03C787E3
	v_add_f32_e32 v228, v228, v196                             // 00000000C690: 03C989E4
	v_add_f32_e32 v229, v229, v197                             // 00000000C694: 03CB8BE5
	v_add_f32_e32 v230, v230, v198                             // 00000000C698: 03CD8DE6
	v_add_f32_e32 v231, v231, v199                             // 00000000C69C: 03CF8FE7
	v_rcp_f32_e32 v58, v62                                     // 00000000C6A0: 7E74453E
	s_waitcnt lgkmcnt(0)                                       // 00000000C6A4: BF8CC07F
	s_barrier                                                  // 00000000C6A8: BF8A0000
	ds_read_b64 v[128:129], v12 offset:25088                   // 00000000C6AC: D8EC6200 8000000C
	ds_read_b64 v[130:131], v12 offset:25216                   // 00000000C6B4: D8EC6280 8200000C
	ds_read_b64 v[132:133], v12 offset:26112                   // 00000000C6BC: D8EC6600 8400000C
	ds_read_b64 v[134:135], v12 offset:26240                   // 00000000C6C4: D8EC6680 8600000C
	ds_read_b64 v[136:137], v12 offset:27136                   // 00000000C6CC: D8EC6A00 8800000C
	ds_read_b64 v[138:139], v12 offset:27264                   // 00000000C6D4: D8EC6A80 8A00000C
	ds_read_b64 v[140:141], v12 offset:28160                   // 00000000C6DC: D8EC6E00 8C00000C
	ds_read_b64 v[142:143], v12 offset:28288                   // 00000000C6E4: D8EC6E80 8E00000C
	v_mov_b32_dpp v41, v53 row_shr:4 row_mask:0xf bank_mask:0xf// 00000000C6EC: 7E5202FA FF011435
	v_mov_b32_dpp v42, v53 row_shl:4 row_mask:0xf bank_mask:0xf// 00000000C6F4: 7E5402FA FF010435
	v_cndmask_b32_e64 v248, v53, v41, s[44:45]                 // 00000000C6FC: D10000F8 00B25335
	v_cndmask_b32_e64 v249, v42, v53, s[44:45]                 // 00000000C704: D10000F9 00B26B2A
	v_mov_b32_dpp v41, v248 row_shr:8 row_mask:0xf bank_mask:0xf// 00000000C70C: 7E5202FA FF0118F8
	v_mov_b32_dpp v42, v248 row_shl:8 row_mask:0xf bank_mask:0xf// 00000000C714: 7E5402FA FF0108F8
	v_mov_b32_dpp v43, v249 row_shr:8 row_mask:0xf bank_mask:0xf// 00000000C71C: 7E5602FA FF0118F9
	v_mov_b32_dpp v44, v249 row_shl:8 row_mask:0xf bank_mask:0xf// 00000000C724: 7E5802FA FF0108F9
	v_mov_b32_e32 v45, v248                                    // 00000000C72C: 7E5A03F8
	v_mov_b32_e32 v46, v249                                    // 00000000C730: 7E5C03F9
	v_cndmask_b32_e64 v248, v45, v41, s[42:43]                 // 00000000C734: D10000F8 00AA532D
	v_cndmask_b32_e64 v250, v45, v42, s[78:79]                 // 00000000C73C: D10000FA 013A552D
	v_cndmask_b32_e64 v249, v46, v43, s[42:43]                 // 00000000C744: D10000F9 00AA572E
	v_cndmask_b32_e64 v251, v46, v44, s[78:79]                 // 00000000C74C: D10000FB 013A592E
	v_mov_b32_dpp v41, v73 row_shr:4 row_mask:0xf bank_mask:0xf// 00000000C754: 7E5202FA FF011449
	v_mov_b32_dpp v42, v73 row_shl:4 row_mask:0xf bank_mask:0xf// 00000000C75C: 7E5402FA FF010449
	v_cndmask_b32_e64 v252, v73, v41, s[44:45]                 // 00000000C764: D10000FC 00B25349
	v_cndmask_b32_e64 v253, v42, v73, s[44:45]                 // 00000000C76C: D10000FD 00B2932A
	v_mov_b32_dpp v41, v252 row_shr:8 row_mask:0xf bank_mask:0xf// 00000000C774: 7E5202FA FF0118FC
	v_mov_b32_dpp v42, v252 row_shl:8 row_mask:0xf bank_mask:0xf// 00000000C77C: 7E5402FA FF0108FC
	v_mov_b32_dpp v43, v253 row_shr:8 row_mask:0xf bank_mask:0xf// 00000000C784: 7E5602FA FF0118FD
	v_mov_b32_dpp v44, v253 row_shl:8 row_mask:0xf bank_mask:0xf// 00000000C78C: 7E5802FA FF0108FD
	v_mov_b32_e32 v45, v252                                    // 00000000C794: 7E5A03FC
	v_mov_b32_e32 v46, v253                                    // 00000000C798: 7E5C03FD
	v_cndmask_b32_e64 v252, v45, v41, s[42:43]                 // 00000000C79C: D10000FC 00AA532D
	v_cndmask_b32_e64 v254, v45, v42, s[78:79]                 // 00000000C7A4: D10000FE 013A552D
	v_cndmask_b32_e64 v253, v46, v43, s[42:43]                 // 00000000C7AC: D10000FD 00AA572E
	v_cndmask_b32_e64 v255, v46, v44, s[78:79]                 // 00000000C7B4: D10000FF 013A592E
	v_cvt_f32_i32_e32 v144, v144                               // 00000000C7BC: 7F200B90
	v_cvt_f32_i32_e32 v145, v145                               // 00000000C7C0: 7F220B91
	v_cvt_f32_i32_e32 v146, v146                               // 00000000C7C4: 7F240B92
	v_cvt_f32_i32_e32 v147, v147                               // 00000000C7C8: 7F260B93
	v_cvt_f32_i32_e32 v148, v148                               // 00000000C7CC: 7F280B94
	v_cvt_f32_i32_e32 v149, v149                               // 00000000C7D0: 7F2A0B95
	v_cvt_f32_i32_e32 v150, v150                               // 00000000C7D4: 7F2C0B96
	v_cvt_f32_i32_e32 v151, v151                               // 00000000C7D8: 7F2E0B97
	v_cvt_f32_i32_e32 v152, v152                               // 00000000C7DC: 7F300B98
	v_cvt_f32_i32_e32 v153, v153                               // 00000000C7E0: 7F320B99
	v_cvt_f32_i32_e32 v154, v154                               // 00000000C7E4: 7F340B9A
	v_cvt_f32_i32_e32 v155, v155                               // 00000000C7E8: 7F360B9B
	v_cvt_f32_i32_e32 v156, v156                               // 00000000C7EC: 7F380B9C
	v_cvt_f32_i32_e32 v157, v157                               // 00000000C7F0: 7F3A0B9D
	v_cvt_f32_i32_e32 v158, v158                               // 00000000C7F4: 7F3C0B9E
	v_cvt_f32_i32_e32 v159, v159                               // 00000000C7F8: 7F3E0B9F
	v_mul_f32_e32 v144, v55, v144                              // 00000000C7FC: 0B212137
	v_mul_f32_e32 v145, v55, v145                              // 00000000C800: 0B232337
	v_mul_f32_e32 v146, v55, v146                              // 00000000C804: 0B252537
	v_mul_f32_e32 v147, v55, v147                              // 00000000C808: 0B272737
	v_mul_f32_e32 v148, v55, v148                              // 00000000C80C: 0B292937
	v_mul_f32_e32 v149, v55, v149                              // 00000000C810: 0B2B2B37
	v_mul_f32_e32 v150, v55, v150                              // 00000000C814: 0B2D2D37
	v_mul_f32_e32 v151, v55, v151                              // 00000000C818: 0B2F2F37
	v_mul_f32_e32 v152, v55, v152                              // 00000000C81C: 0B313137
	v_mul_f32_e32 v153, v55, v153                              // 00000000C820: 0B333337
	v_mul_f32_e32 v154, v55, v154                              // 00000000C824: 0B353537
	v_mul_f32_e32 v155, v55, v155                              // 00000000C828: 0B373737
	v_mul_f32_e32 v156, v55, v156                              // 00000000C82C: 0B393937
	v_mul_f32_e32 v157, v55, v157                              // 00000000C830: 0B3B3B37
	v_mul_f32_e32 v158, v55, v158                              // 00000000C834: 0B3D3D37
	v_mul_f32_e32 v159, v55, v159                              // 00000000C838: 0B3F3F37
	v_mul_f32_dpp v144, v248, v144 quad_perm:[0,0,0,0] row_mask:0xf bank_mask:0xf// 00000000C83C: 0B2120FA FF0000F8
	v_mul_f32_dpp v145, v248, v145 quad_perm:[1,1,1,1] row_mask:0xf bank_mask:0xf// 00000000C844: 0B2322FA FF0055F8
	v_mul_f32_dpp v146, v248, v146 quad_perm:[2,2,2,2] row_mask:0xf bank_mask:0xf// 00000000C84C: 0B2524FA FF00AAF8
	v_mul_f32_dpp v147, v248, v147 quad_perm:[3,3,3,3] row_mask:0xf bank_mask:0xf// 00000000C854: 0B2726FA FF00FFF8
	v_mul_f32_dpp v148, v249, v148 quad_perm:[0,0,0,0] row_mask:0xf bank_mask:0xf// 00000000C85C: 0B2928FA FF0000F9
	v_mul_f32_dpp v149, v249, v149 quad_perm:[1,1,1,1] row_mask:0xf bank_mask:0xf// 00000000C864: 0B2B2AFA FF0055F9
	v_mul_f32_dpp v150, v249, v150 quad_perm:[2,2,2,2] row_mask:0xf bank_mask:0xf// 00000000C86C: 0B2D2CFA FF00AAF9
	v_mul_f32_dpp v151, v249, v151 quad_perm:[3,3,3,3] row_mask:0xf bank_mask:0xf// 00000000C874: 0B2F2EFA FF00FFF9
	v_mul_f32_dpp v152, v250, v152 quad_perm:[0,0,0,0] row_mask:0xf bank_mask:0xf// 00000000C87C: 0B3130FA FF0000FA
	v_mul_f32_dpp v153, v250, v153 quad_perm:[1,1,1,1] row_mask:0xf bank_mask:0xf// 00000000C884: 0B3332FA FF0055FA
	v_mul_f32_dpp v154, v250, v154 quad_perm:[2,2,2,2] row_mask:0xf bank_mask:0xf// 00000000C88C: 0B3534FA FF00AAFA
	v_mul_f32_dpp v155, v250, v155 quad_perm:[3,3,3,3] row_mask:0xf bank_mask:0xf// 00000000C894: 0B3736FA FF00FFFA
	v_mul_f32_dpp v156, v251, v156 quad_perm:[0,0,0,0] row_mask:0xf bank_mask:0xf// 00000000C89C: 0B3938FA FF0000FB
	v_mul_f32_dpp v157, v251, v157 quad_perm:[1,1,1,1] row_mask:0xf bank_mask:0xf// 00000000C8A4: 0B3B3AFA FF0055FB
	v_mul_f32_dpp v158, v251, v158 quad_perm:[2,2,2,2] row_mask:0xf bank_mask:0xf// 00000000C8AC: 0B3D3CFA FF00AAFB
	v_mul_f32_dpp v159, v251, v159 quad_perm:[3,3,3,3] row_mask:0xf bank_mask:0xf// 00000000C8B4: 0B3F3EFA FF00FFFB
	v_mov_b32_e32 v62, v144                                    // 00000000C8BC: 7E7C0390
	v_max3_f32 v62, v144, v145, v62                            // 00000000C8C0: D1D3003E 04FB2390
	v_max3_f32 v62, v146, v147, v62                            // 00000000C8C8: D1D3003E 04FB2792
	v_max3_f32 v62, v148, v149, v62                            // 00000000C8D0: D1D3003E 04FB2B94
	v_max3_f32 v62, v150, v151, v62                            // 00000000C8D8: D1D3003E 04FB2F96
	v_max3_f32 v62, v152, v153, v62                            // 00000000C8E0: D1D3003E 04FB3398
	v_max3_f32 v62, v154, v155, v62                            // 00000000C8E8: D1D3003E 04FB379A
	v_max3_f32 v62, v156, v157, v62                            // 00000000C8F0: D1D3003E 04FB3B9C
	v_max3_f32 v62, v158, v159, v62                            // 00000000C8F8: D1D3003E 04FB3F9E
	ds_write_b32 v11, v62 offset:16896                         // 00000000C900: D81A4200 00003E0B
	v_mul_f32_e32 v232, v64, v232                              // 00000000C908: 0BD1D140
	v_mul_f32_e32 v233, v64, v233                              // 00000000C90C: 0BD3D340
	v_mul_f32_e32 v234, v64, v234                              // 00000000C910: 0BD5D540
	v_mul_f32_e32 v235, v64, v235                              // 00000000C914: 0BD7D740
	v_mul_f32_e32 v236, v64, v236                              // 00000000C918: 0BD9D940
	v_mul_f32_e32 v237, v64, v237                              // 00000000C91C: 0BDBDB40
	v_mul_f32_e32 v238, v64, v238                              // 00000000C920: 0BDDDD40
	v_mul_f32_e32 v239, v64, v239                              // 00000000C924: 0BDFDF40
	s_waitcnt lgkmcnt(0)                                       // 00000000C928: BF8CC07F
	s_barrier                                                  // 00000000C92C: BF8A0000
	ds_read_b32 v80, v10 offset:16896                          // 00000000C930: D86C4200 5000000A
	ds_read_b32 v81, v10 offset:16960                          // 00000000C938: D86C4240 5100000A
	ds_read_b32 v82, v10 offset:17024                          // 00000000C940: D86C4280 5200000A
	ds_read_b32 v83, v10 offset:17088                          // 00000000C948: D86C42C0 5300000A
	ds_read_b32 v84, v10 offset:17152                          // 00000000C950: D86C4300 5400000A
	ds_read_b32 v85, v10 offset:17216                          // 00000000C958: D86C4340 5500000A
	ds_read_b32 v86, v10 offset:17280                          // 00000000C960: D86C4380 5600000A
	ds_read_b32 v87, v10 offset:17344                          // 00000000C968: D86C43C0 5700000A
	ds_read_b32 v88, v10 offset:17408                          // 00000000C970: D86C4400 5800000A
	ds_read_b32 v89, v10 offset:17472                          // 00000000C978: D86C4440 5900000A
	ds_read_b32 v90, v10 offset:17536                          // 00000000C980: D86C4480 5A00000A
	ds_read_b32 v91, v10 offset:17600                          // 00000000C988: D86C44C0 5B00000A
	ds_read_b32 v92, v10 offset:17664                          // 00000000C990: D86C4500 5C00000A
	ds_read_b32 v93, v10 offset:17728                          // 00000000C998: D86C4540 5D00000A
	ds_read_b32 v94, v10 offset:17792                          // 00000000C9A0: D86C4580 5E00000A
	ds_read_b32 v95, v10 offset:17856                          // 00000000C9A8: D86C45C0 5F00000A
	v_cvt_f32_i32_e32 v200, v200                               // 00000000C9B0: 7F900BC8
	v_cvt_f32_i32_e32 v201, v201                               // 00000000C9B4: 7F920BC9
	v_cvt_f32_i32_e32 v202, v202                               // 00000000C9B8: 7F940BCA
	v_cvt_f32_i32_e32 v203, v203                               // 00000000C9BC: 7F960BCB
	v_cvt_f32_i32_e32 v204, v204                               // 00000000C9C0: 7F980BCC
	v_cvt_f32_i32_e32 v205, v205                               // 00000000C9C4: 7F9A0BCD
	v_cvt_f32_i32_e32 v206, v206                               // 00000000C9C8: 7F9C0BCE
	v_cvt_f32_i32_e32 v207, v207                               // 00000000C9CC: 7F9E0BCF
	v_mul_f32_e32 v200, v59, v200                              // 00000000C9D0: 0B91913B
	v_mul_f32_e32 v201, v59, v201                              // 00000000C9D4: 0B93933B
	v_mul_f32_e32 v202, v59, v202                              // 00000000C9D8: 0B95953B
	v_mul_f32_e32 v203, v59, v203                              // 00000000C9DC: 0B97973B
	v_mul_f32_e32 v204, v59, v204                              // 00000000C9E0: 0B99993B
	v_mul_f32_e32 v205, v59, v205                              // 00000000C9E4: 0B9B9B3B
	v_mul_f32_e32 v206, v59, v206                              // 00000000C9E8: 0B9D9D3B
	v_mul_f32_e32 v207, v59, v207                              // 00000000C9EC: 0B9F9F3B
	s_waitcnt lgkmcnt(0)                                       // 00000000C9F0: BF8CC07F
	v_max3_f32 v62, v80, v81, v62                              // 00000000C9F4: D1D3003E 04FAA350
	v_max3_f32 v62, v82, v83, v62                              // 00000000C9FC: D1D3003E 04FAA752
	v_max3_f32 v62, v84, v85, v62                              // 00000000CA04: D1D3003E 04FAAB54
	v_max3_f32 v62, v86, v87, v62                              // 00000000CA0C: D1D3003E 04FAAF56
	v_max3_f32 v62, v88, v89, v62                              // 00000000CA14: D1D3003E 04FAB358
	v_max3_f32 v62, v90, v91, v62                              // 00000000CA1C: D1D3003E 04FAB75A
	v_max3_f32 v62, v92, v93, v62                              // 00000000CA24: D1D3003E 04FABB5C
	v_max3_f32 v62, v94, v95, v62                              // 00000000CA2C: D1D3003E 04FABF5E
	v_mov_b32_e32 v41, 0xff800000                              // 00000000CA34: 7E5202FF FF800000
	v_cmp_eq_u32_e64 s[40:41], v41, v15                        // 00000000CA3C: D0CA0028 00021F29
	s_nop 1                                                    // 00000000CA44: BF800001
	v_max_f32_e32 v18, v62, v15                                // 00000000CA48: 16241F3E
	v_mul_f32_e32 v67, s64, v18                                // 00000000CA4C: 0A862440
	v_fma_f32 v144, v144, s64, -v67                            // 00000000CA50: D1CB0090 850C8190
	v_fma_f32 v145, v145, s64, -v67                            // 00000000CA58: D1CB0091 850C8191
	v_fma_f32 v146, v146, s64, -v67                            // 00000000CA60: D1CB0092 850C8192
	v_fma_f32 v147, v147, s64, -v67                            // 00000000CA68: D1CB0093 850C8193
	v_fma_f32 v148, v148, s64, -v67                            // 00000000CA70: D1CB0094 850C8194
	v_fma_f32 v149, v149, s64, -v67                            // 00000000CA78: D1CB0095 850C8195
	v_fma_f32 v150, v150, s64, -v67                            // 00000000CA80: D1CB0096 850C8196
	v_fma_f32 v151, v151, s64, -v67                            // 00000000CA88: D1CB0097 850C8197
	v_fma_f32 v152, v152, s64, -v67                            // 00000000CA90: D1CB0098 850C8198
	v_fma_f32 v153, v153, s64, -v67                            // 00000000CA98: D1CB0099 850C8199
	v_fma_f32 v154, v154, s64, -v67                            // 00000000CAA0: D1CB009A 850C819A
	v_fma_f32 v155, v155, s64, -v67                            // 00000000CAA8: D1CB009B 850C819B
	v_fma_f32 v156, v156, s64, -v67                            // 00000000CAB0: D1CB009C 850C819C
	v_fma_f32 v157, v157, s64, -v67                            // 00000000CAB8: D1CB009D 850C819D
	v_fma_f32 v158, v158, s64, -v67                            // 00000000CAC0: D1CB009E 850C819E
	v_fma_f32 v159, v159, s64, -v67                            // 00000000CAC8: D1CB009F 850C819F
	v_exp_f32_e32 v144, v144                                   // 00000000CAD0: 7F204190
	v_exp_f32_e32 v145, v145                                   // 00000000CAD4: 7F224191
	v_exp_f32_e32 v146, v146                                   // 00000000CAD8: 7F244192
	v_exp_f32_e32 v147, v147                                   // 00000000CADC: 7F264193
	v_exp_f32_e32 v148, v148                                   // 00000000CAE0: 7F284194
	v_exp_f32_e32 v149, v149                                   // 00000000CAE4: 7F2A4195
	v_exp_f32_e32 v150, v150                                   // 00000000CAE8: 7F2C4196
	v_exp_f32_e32 v151, v151                                   // 00000000CAEC: 7F2E4197
	v_exp_f32_e32 v152, v152                                   // 00000000CAF0: 7F304198
	v_exp_f32_e32 v153, v153                                   // 00000000CAF4: 7F324199
	v_exp_f32_e32 v154, v154                                   // 00000000CAF8: 7F34419A
	v_exp_f32_e32 v155, v155                                   // 00000000CAFC: 7F36419B
	v_exp_f32_e32 v156, v156                                   // 00000000CB00: 7F38419C
	v_exp_f32_e32 v157, v157                                   // 00000000CB04: 7F3A419D
	v_exp_f32_e32 v158, v158                                   // 00000000CB08: 7F3C419E
	v_exp_f32_e32 v159, v159                                   // 00000000CB0C: 7F3E419F
	v_mul_f32_dpp v240, v252, v144 quad_perm:[0,0,0,0] row_mask:0xf bank_mask:0xf// 00000000CB10: 0BE120FA FF0000FC
	v_mul_f32_dpp v241, v252, v145 quad_perm:[1,1,1,1] row_mask:0xf bank_mask:0xf// 00000000CB18: 0BE322FA FF0055FC
	v_mul_f32_dpp v242, v252, v146 quad_perm:[2,2,2,2] row_mask:0xf bank_mask:0xf// 00000000CB20: 0BE524FA FF00AAFC
	v_mul_f32_dpp v243, v252, v147 quad_perm:[3,3,3,3] row_mask:0xf bank_mask:0xf// 00000000CB28: 0BE726FA FF00FFFC
	v_mul_f32_dpp v244, v253, v148 quad_perm:[0,0,0,0] row_mask:0xf bank_mask:0xf// 00000000CB30: 0BE928FA FF0000FD
	v_mul_f32_dpp v245, v253, v149 quad_perm:[1,1,1,1] row_mask:0xf bank_mask:0xf// 00000000CB38: 0BEB2AFA FF0055FD
	v_mul_f32_dpp v246, v253, v150 quad_perm:[2,2,2,2] row_mask:0xf bank_mask:0xf// 00000000CB40: 0BED2CFA FF00AAFD
	v_mul_f32_dpp v247, v253, v151 quad_perm:[3,3,3,3] row_mask:0xf bank_mask:0xf// 00000000CB48: 0BEF2EFA FF00FFFD
	v_mul_f32_dpp v248, v254, v152 quad_perm:[0,0,0,0] row_mask:0xf bank_mask:0xf// 00000000CB50: 0BF130FA FF0000FE
	v_mul_f32_dpp v249, v254, v153 quad_perm:[1,1,1,1] row_mask:0xf bank_mask:0xf// 00000000CB58: 0BF332FA FF0055FE
	v_mul_f32_dpp v250, v254, v154 quad_perm:[2,2,2,2] row_mask:0xf bank_mask:0xf// 00000000CB60: 0BF534FA FF00AAFE
	v_mul_f32_dpp v251, v254, v155 quad_perm:[3,3,3,3] row_mask:0xf bank_mask:0xf// 00000000CB68: 0BF736FA FF00FFFE
	v_mul_f32_dpp v252, v255, v156 quad_perm:[0,0,0,0] row_mask:0xf bank_mask:0xf// 00000000CB70: 0BF938FA FF0000FF
	v_mul_f32_dpp v253, v255, v157 quad_perm:[1,1,1,1] row_mask:0xf bank_mask:0xf// 00000000CB78: 0BFB3AFA FF0055FF
	v_mul_f32_dpp v254, v255, v158 quad_perm:[2,2,2,2] row_mask:0xf bank_mask:0xf// 00000000CB80: 0BFD3CFA FF00AAFF
	v_mul_f32_dpp v255, v255, v159 quad_perm:[3,3,3,3] row_mask:0xf bank_mask:0xf// 00000000CB88: 0BFF3EFA FF00FFFF
	v_mov_b32_e32 v62, 0x358637bd                              // 00000000CB90: 7E7C02FF 358637BD
	v_max3_f32 v62, |v240|, |v241|, v62                        // 00000000CB98: D1D3033E 04FBE3F0
	v_max3_f32 v62, |v242|, |v243|, v62                        // 00000000CBA0: D1D3033E 04FBE7F2
	v_max3_f32 v62, |v244|, |v245|, v62                        // 00000000CBA8: D1D3033E 04FBEBF4
	v_max3_f32 v62, |v246|, |v247|, v62                        // 00000000CBB0: D1D3033E 04FBEFF6
	v_max3_f32 v62, |v248|, |v249|, v62                        // 00000000CBB8: D1D3033E 04FBF3F8
	v_max3_f32 v62, |v250|, |v251|, v62                        // 00000000CBC0: D1D3033E 04FBF7FA
	v_max3_f32 v62, |v252|, |v253|, v62                        // 00000000CBC8: D1D3033E 04FBFBFC
	v_max3_f32 v62, |v254|, |v255|, v62                        // 00000000CBD0: D1D3033E 04FBFFFE
	ds_write_b32 v11, v62 offset:20992                         // 00000000CBD8: D81A5200 00003E0B
	v_sub_f32_e32 v64, v15, v18                                // 00000000CBE0: 0480250F
	v_cndmask_b32_e64 v64, v64, 0, s[40:41]                    // 00000000CBE4: D1000040 00A10140
	v_mov_b32_e32 v15, v18                                     // 00000000CBEC: 7E1E0312
	v_mul_f32_e32 v64, s64, v64                                // 00000000CBF0: 0A808040
	v_exp_f32_e32 v64, v64                                     // 00000000CBF4: 7E804140
	s_waitcnt lgkmcnt(0)                                       // 00000000CBF8: BF8CC07F
	s_barrier                                                  // 00000000CBFC: BF8A0000
	ds_read_b32 v80, v10 offset:20992                          // 00000000CC00: D86C5200 5000000A
	ds_read_b32 v81, v10 offset:21056                          // 00000000CC08: D86C5240 5100000A
	ds_read_b32 v82, v10 offset:21120                          // 00000000CC10: D86C5280 5200000A
	ds_read_b32 v83, v10 offset:21184                          // 00000000CC18: D86C52C0 5300000A
	ds_read_b32 v84, v10 offset:21248                          // 00000000CC20: D86C5300 5400000A
	ds_read_b32 v85, v10 offset:21312                          // 00000000CC28: D86C5340 5500000A
	ds_read_b32 v86, v10 offset:21376                          // 00000000CC30: D86C5380 5600000A
	ds_read_b32 v87, v10 offset:21440                          // 00000000CC38: D86C53C0 5700000A
	ds_read_b32 v88, v10 offset:21504                          // 00000000CC40: D86C5400 5800000A
	ds_read_b32 v89, v10 offset:21568                          // 00000000CC48: D86C5440 5900000A
	ds_read_b32 v90, v10 offset:21632                          // 00000000CC50: D86C5480 5A00000A
	ds_read_b32 v91, v10 offset:21696                          // 00000000CC58: D86C54C0 5B00000A
	ds_read_b32 v92, v10 offset:21760                          // 00000000CC60: D86C5500 5C00000A
	ds_read_b32 v93, v10 offset:21824                          // 00000000CC68: D86C5540 5D00000A
	ds_read_b32 v94, v10 offset:21888                          // 00000000CC70: D86C5580 5E00000A
	ds_read_b32 v95, v10 offset:21952                          // 00000000CC78: D86C55C0 5F00000A
	v_mul_f32_e32 v48, v64, v48                                // 00000000CC80: 0A606140
	v_mov_b32_e32 v18, v144                                    // 00000000CC84: 7E240390
	v_add_f32_e32 v18, v145, v18                               // 00000000CC88: 02242591
	v_add_f32_e32 v18, v146, v18                               // 00000000CC8C: 02242592
	v_add_f32_e32 v18, v147, v18                               // 00000000CC90: 02242593
	v_add_f32_e32 v18, v148, v18                               // 00000000CC94: 02242594
	v_add_f32_e32 v18, v149, v18                               // 00000000CC98: 02242595
	v_add_f32_e32 v18, v150, v18                               // 00000000CC9C: 02242596
	v_add_f32_e32 v18, v151, v18                               // 00000000CCA0: 02242597
	v_add_f32_e32 v18, v152, v18                               // 00000000CCA4: 02242598
	v_add_f32_e32 v18, v153, v18                               // 00000000CCA8: 02242599
	v_add_f32_e32 v18, v154, v18                               // 00000000CCAC: 0224259A
	v_add_f32_e32 v18, v155, v18                               // 00000000CCB0: 0224259B
	v_add_f32_e32 v18, v156, v18                               // 00000000CCB4: 0224259C
	v_add_f32_e32 v18, v157, v18                               // 00000000CCB8: 0224259D
	v_add_f32_e32 v18, v158, v18                               // 00000000CCBC: 0224259E
	v_add_f32_e32 v18, v159, v18                               // 00000000CCC0: 0224259F
	v_add_f32_e32 v48, v18, v48                                // 00000000CCC4: 02606112
	s_waitcnt lgkmcnt(0)                                       // 00000000CCC8: BF8CC07F
	v_max3_f32 v62, |v80|, |v81|, v62                          // 00000000CCCC: D1D3033E 04FAA350
	v_max3_f32 v62, |v82|, |v83|, v62                          // 00000000CCD4: D1D3033E 04FAA752
	v_max3_f32 v62, |v84|, |v85|, v62                          // 00000000CCDC: D1D3033E 04FAAB54
	v_max3_f32 v62, |v86|, |v87|, v62                          // 00000000CCE4: D1D3033E 04FAAF56
	v_max3_f32 v62, |v88|, |v89|, v62                          // 00000000CCEC: D1D3033E 04FAB358
	v_max3_f32 v62, |v90|, |v91|, v62                          // 00000000CCF4: D1D3033E 04FAB75A
	v_max3_f32 v62, |v92|, |v93|, v62                          // 00000000CCFC: D1D3033E 04FABB5C
	v_max3_f32 v62, |v94|, |v95|, v62                          // 00000000CD04: D1D3033E 04FABF5E
	s_nop 2                                                    // 00000000CD0C: BF800002
	v_rcp_f32_e32 v62, v62                                     // 00000000CD10: 7E7C453E
	s_nop 1                                                    // 00000000CD14: BF800001
	v_mul_f32_e32 v62, 0x42fe0000, v62                         // 00000000CD18: 0A7C7CFF 42FE0000
	v_mul_f32_e32 v144, v62, v240                              // 00000000CD20: 0B21E13E
	v_mul_f32_e32 v145, v62, v241                              // 00000000CD24: 0B23E33E
	v_mul_f32_e32 v146, v62, v242                              // 00000000CD28: 0B25E53E
	v_mul_f32_e32 v147, v62, v243                              // 00000000CD2C: 0B27E73E
	v_mul_f32_e32 v148, v62, v244                              // 00000000CD30: 0B29E93E
	v_mul_f32_e32 v149, v62, v245                              // 00000000CD34: 0B2BEB3E
	v_mul_f32_e32 v150, v62, v246                              // 00000000CD38: 0B2DED3E
	v_mul_f32_e32 v151, v62, v247                              // 00000000CD3C: 0B2FEF3E
	v_mul_f32_e32 v152, v62, v248                              // 00000000CD40: 0B31F13E
	v_mul_f32_e32 v153, v62, v249                              // 00000000CD44: 0B33F33E
	v_mul_f32_e32 v154, v62, v250                              // 00000000CD48: 0B35F53E
	v_mul_f32_e32 v155, v62, v251                              // 00000000CD4C: 0B37F73E
	v_mul_f32_e32 v156, v62, v252                              // 00000000CD50: 0B39F93E
	v_mul_f32_e32 v157, v62, v253                              // 00000000CD54: 0B3BFB3E
	v_mul_f32_e32 v158, v62, v254                              // 00000000CD58: 0B3DFD3E
	v_mul_f32_e32 v159, v62, v255                              // 00000000CD5C: 0B3FFF3E
	v_cvt_i32_f32_e32 v144, v144                               // 00000000CD60: 7F201190
	v_cvt_i32_f32_e32 v145, v145                               // 00000000CD64: 7F221191
	v_cvt_i32_f32_e32 v146, v146                               // 00000000CD68: 7F241192
	v_cvt_i32_f32_e32 v147, v147                               // 00000000CD6C: 7F261193
	v_cvt_i32_f32_e32 v148, v148                               // 00000000CD70: 7F281194
	v_cvt_i32_f32_e32 v149, v149                               // 00000000CD74: 7F2A1195
	v_cvt_i32_f32_e32 v150, v150                               // 00000000CD78: 7F2C1196
	v_cvt_i32_f32_e32 v151, v151                               // 00000000CD7C: 7F2E1197
	v_cvt_i32_f32_e32 v152, v152                               // 00000000CD80: 7F301198
	v_cvt_i32_f32_e32 v153, v153                               // 00000000CD84: 7F321199
	v_cvt_i32_f32_e32 v154, v154                               // 00000000CD88: 7F34119A
	v_cvt_i32_f32_e32 v155, v155                               // 00000000CD8C: 7F36119B
	v_cvt_i32_f32_e32 v156, v156                               // 00000000CD90: 7F38119C
	v_cvt_i32_f32_e32 v157, v157                               // 00000000CD94: 7F3A119D
	v_cvt_i32_f32_e32 v158, v158                               // 00000000CD98: 7F3C119E
	v_cvt_i32_f32_e32 v159, v159                               // 00000000CD9C: 7F3E119F
	v_perm_b32 v144, v145, v144, s53                           // 00000000CDA0: D1ED0090 00D72191
	v_perm_b32 v144, v146, v144, s54                           // 00000000CDA8: D1ED0090 00DB2192
	v_perm_b32 v144, v147, v144, s55                           // 00000000CDB0: D1ED0090 00DF2193
	v_perm_b32 v145, v149, v148, s53                           // 00000000CDB8: D1ED0091 00D72995
	v_perm_b32 v145, v150, v145, s54                           // 00000000CDC0: D1ED0091 00DB2396
	v_perm_b32 v145, v151, v145, s55                           // 00000000CDC8: D1ED0091 00DF2397
	v_perm_b32 v146, v153, v152, s53                           // 00000000CDD0: D1ED0092 00D73199
	v_perm_b32 v146, v154, v146, s54                           // 00000000CDD8: D1ED0092 00DB259A
	v_perm_b32 v146, v155, v146, s55                           // 00000000CDE0: D1ED0092 00DF259B
	v_perm_b32 v147, v157, v156, s53                           // 00000000CDE8: D1ED0093 00D7399D
	v_perm_b32 v147, v158, v147, s54                           // 00000000CDF0: D1ED0093 00DB279E
	v_perm_b32 v147, v159, v147, s55                           // 00000000CDF8: D1ED0093 00DF279F
	ds_write_b32 v13, v144 offset:29184                        // 00000000CE00: D81A7200 0000900D
	ds_write_b32 v13, v145 offset:30208                        // 00000000CE08: D81A7600 0000910D
	ds_write_b32 v13, v146 offset:31232                        // 00000000CE10: D81A7A00 0000920D
	ds_write_b32 v13, v147 offset:32256                        // 00000000CE18: D81A7E00 0000930D
	v_add_f32_e32 v232, v232, v200                             // 00000000CE20: 03D191E8
	v_add_f32_e32 v233, v233, v201                             // 00000000CE24: 03D393E9
	v_add_f32_e32 v234, v234, v202                             // 00000000CE28: 03D595EA
	v_add_f32_e32 v235, v235, v203                             // 00000000CE2C: 03D797EB
	v_add_f32_e32 v236, v236, v204                             // 00000000CE30: 03D999EC
	v_add_f32_e32 v237, v237, v205                             // 00000000CE34: 03DB9BED
	v_add_f32_e32 v238, v238, v206                             // 00000000CE38: 03DD9DEE
	v_add_f32_e32 v239, v239, v207                             // 00000000CE3C: 03DF9FEF
	v_rcp_f32_e32 v59, v62                                     // 00000000CE40: 7E76453E
	s_waitcnt lgkmcnt(0)                                       // 00000000CE44: BF8CC07F
	s_barrier                                                  // 00000000CE48: BF8A0000
	ds_read_b64 v[144:145], v12 offset:29184                   // 00000000CE4C: D8EC7200 9000000C
	ds_read_b64 v[146:147], v12 offset:29312                   // 00000000CE54: D8EC7280 9200000C
	ds_read_b64 v[148:149], v12 offset:30208                   // 00000000CE5C: D8EC7600 9400000C
	ds_read_b64 v[150:151], v12 offset:30336                   // 00000000CE64: D8EC7680 9600000C
	ds_read_b64 v[152:153], v12 offset:31232                   // 00000000CE6C: D8EC7A00 9800000C
	ds_read_b64 v[154:155], v12 offset:31360                   // 00000000CE74: D8EC7A80 9A00000C
	ds_read_b64 v[156:157], v12 offset:32256                   // 00000000CE7C: D8EC7E00 9C00000C
	ds_read_b64 v[158:159], v12 offset:32384                   // 00000000CE84: D8EC7E80 9E00000C
	s_waitcnt vmcnt(15)                                        // 00000000CE8C: BF8C0F7F
	v_mfma_i32_16x16x32_i8 v[192:195], a[96:97], v[128:129], 0 // 00000000CE90: D3D700C0 0A030160
	v_mfma_i32_16x16x32_i8 v[192:195], a[98:99], v[130:131], v[192:195]// 00000000CE98: D3D700C0 0F030562
	buffer_load_dwordx4 a[80:83], v33, s[20:23], 0 offen offset:1024// 00000000CEA0: E05C1400 80855021
	v_mfma_i32_16x16x32_i8 v[192:195], a[100:101], v[132:133], v[192:195]// 00000000CEA8: D3D700C0 0F030964
	v_mfma_i32_16x16x32_i8 v[192:195], a[102:103], v[134:135], v[192:195]// 00000000CEB0: D3D700C0 0F030D66
	v_mfma_i32_16x16x32_i8 v[192:195], a[104:105], v[136:137], v[192:195]// 00000000CEB8: D3D700C0 0F031168
	v_mfma_i32_16x16x32_i8 v[192:195], a[106:107], v[138:139], v[192:195]// 00000000CEC0: D3D700C0 0F03156A
	buffer_load_dwordx4 a[84:87], v34, s[20:23], 0 offen offset:1024// 00000000CEC8: E05C1400 80855422
	v_mfma_i32_16x16x32_i8 v[192:195], a[108:109], v[140:141], v[192:195]// 00000000CED0: D3D700C0 0F03196C
	v_mfma_i32_16x16x32_i8 v[192:195], a[110:111], v[142:143], v[192:195]// 00000000CED8: D3D700C0 0F031D6E
	v_mfma_i32_16x16x32_i8 v[196:199], a[112:113], v[128:129], 0// 00000000CEE0: D3D700C4 0A030170
	v_mfma_i32_16x16x32_i8 v[196:199], a[114:115], v[130:131], v[196:199]// 00000000CEE8: D3D700C4 0F130572
	buffer_load_dwordx4 a[88:91], v35, s[20:23], 0 offen offset:1024// 00000000CEF0: E05C1400 80855823
	v_mfma_i32_16x16x32_i8 v[196:199], a[116:117], v[132:133], v[196:199]// 00000000CEF8: D3D700C4 0F130974
	v_mfma_i32_16x16x32_i8 v[196:199], a[118:119], v[134:135], v[196:199]// 00000000CF00: D3D700C4 0F130D76
	v_mfma_i32_16x16x32_i8 v[196:199], a[120:121], v[136:137], v[196:199]// 00000000CF08: D3D700C4 0F131178
	v_mfma_i32_16x16x32_i8 v[196:199], a[122:123], v[138:139], v[196:199]// 00000000CF10: D3D700C4 0F13157A
	buffer_load_dwordx4 a[92:95], v36, s[20:23], 0 offen offset:1024// 00000000CF18: E05C1400 80855C24
	v_mfma_i32_16x16x32_i8 v[196:199], a[124:125], v[140:141], v[196:199]// 00000000CF20: D3D700C4 0F13197C
	s_lshr_b32 s57, s70, 4                                     // 00000000CF28: 8F398446
	s_add_u32 s57, 48, s57                                     // 00000000CF2C: 803939B0
	v_mfma_i32_16x16x32_i8 v[196:199], a[126:127], v[142:143], v[196:199]// 00000000CF30: D3D700C4 0F131D7E
	s_cmp_ge_u32 s57, s73                                      // 00000000CF38: BF094939
	s_cselect_b32 s56, 0, s56                                  // 00000000CF3C: 85383880
	v_mfma_i32_16x16x32_i8 v[200:203], a[96:97], v[144:145], 0 // 00000000CF40: D3D700C8 0A032160
	v_mfma_i32_16x16x32_i8 v[200:203], a[98:99], v[146:147], v[200:203]// 00000000CF48: D3D700C8 0F232562
	v_mfma_i32_16x16x32_i8 v[200:203], a[100:101], v[148:149], v[200:203]// 00000000CF50: D3D700C8 0F232964
	v_mfma_i32_16x16x32_i8 v[200:203], a[102:103], v[150:151], v[200:203]// 00000000CF58: D3D700C8 0F232D66
	v_mfma_i32_16x16x32_i8 v[200:203], a[104:105], v[152:153], v[200:203]// 00000000CF60: D3D700C8 0F233168
	v_mfma_i32_16x16x32_i8 v[200:203], a[106:107], v[154:155], v[200:203]// 00000000CF68: D3D700C8 0F23356A
	v_mfma_i32_16x16x32_i8 v[200:203], a[108:109], v[156:157], v[200:203]// 00000000CF70: D3D700C8 0F23396C
	v_mfma_i32_16x16x32_i8 v[200:203], a[110:111], v[158:159], v[200:203]// 00000000CF78: D3D700C8 0F233D6E
	v_mfma_i32_16x16x32_i8 v[204:207], a[112:113], v[144:145], 0// 00000000CF80: D3D700CC 0A032170
	v_mfma_i32_16x16x32_i8 v[204:207], a[114:115], v[146:147], v[204:207]// 00000000CF88: D3D700CC 0F332572
	v_mfma_i32_16x16x32_i8 v[204:207], a[116:117], v[148:149], v[204:207]// 00000000CF90: D3D700CC 0F332974
	v_mfma_i32_16x16x32_i8 v[204:207], a[118:119], v[150:151], v[204:207]// 00000000CF98: D3D700CC 0F332D76
	v_mfma_i32_16x16x32_i8 v[204:207], a[120:121], v[152:153], v[204:207]// 00000000CFA0: D3D700CC 0F333178
	v_mfma_i32_16x16x32_i8 v[204:207], a[122:123], v[154:155], v[204:207]// 00000000CFA8: D3D700CC 0F33357A
	v_mfma_i32_16x16x32_i8 v[204:207], a[124:125], v[156:157], v[204:207]// 00000000CFB0: D3D700CC 0F33397C
	v_mfma_i32_16x16x32_i8 v[204:207], a[126:127], v[158:159], v[204:207]// 00000000CFB8: D3D700CC 0F333D7E
	v_add_u32_e32 v1, s56, v1                                  // 00000000CFC0: 68020238
	s_addk_i32 s70, 0x100                                      // 00000000CFC4: B7460100
	s_cmp_lt_i32 s70, s71                                      // 00000000CFC8: BF044746
	s_cbranch_scc0 label_2B75                                  // 00000000CFCC: BF840001
	s_branch label_2238                                        // 00000000CFD0: BF82F6C3

000000000000cfd4 <label_2B75>:
	s_nop 0                                                    // 00000000CFD4: BF800000
	s_nop 0                                                    // 00000000CFD8: BF800000
	s_branch label_34B5                                        // 00000000CFDC: BF82093D

000000000000cfe0 <label_2B78>:
	s_waitcnt vmcnt(8) lgkmcnt(0)                              // 00000000CFE0: BF8C0078
	v_mul_u32_u24_dpp v41, v20, v68 row_newbcast:0 row_mask:0xf bank_mask:0xf// 00000000CFE4: 105288FA FF015014
	v_mul_u32_u24_dpp v42, v20, v68 row_newbcast:4 row_mask:0xf bank_mask:0xf// 00000000CFEC: 105488FA FF015414
	v_mul_u32_u24_dpp v43, v20, v68 row_newbcast:8 row_mask:0xf bank_mask:0xf// 00000000CFF4: 105688FA FF015814
	v_mul_u32_u24_dpp v44, v20, v68 row_newbcast:12 row_mask:0xf bank_mask:0xf// 00000000CFFC: 105888FA FF015C14
	v_add_u32_e32 v29, v41, v6                                 // 00000000D004: 683A0D29
	v_add_u32_e32 v30, v42, v6                                 // 00000000D008: 683C0D2A
	v_add_u32_e32 v31, v43, v6                                 // 00000000D00C: 683E0D2B
	v_add_u32_e32 v32, v44, v6                                 // 00000000D010: 68400D2C
	v_mul_u32_u24_dpp v41, v20, v78 quad_perm:[0,0,0,0] row_mask:0xf bank_mask:0xf// 00000000D014: 10529CFA FF000014
	v_add_u32_e32 v3, v41, v74                                 // 00000000D01C: 68069529
	v_mul_u32_u24_dpp v41, v20, v78 quad_perm:[0,0,0,0] row_mask:0xf bank_mask:0xf// 00000000D020: 10529CFA FF000014
	v_add_u32_e32 v71, v41, v75                                // 00000000D028: 688E9729
	v_mfma_i32_16x16x32_i8 v[128:131], a[0:1], v[96:97], 0     // 00000000D02C: D3D70080 0A02C100
	buffer_load_dwordx4 a[32:35], v29, s[16:19], 0 offen       // 00000000D034: E05C1000 8084201D
	v_mfma_i32_16x16x32_i8 v[128:131], a[2:3], v[98:99], v[128:131]// 00000000D03C: D3D70080 0E02C502
	v_mfma_i32_16x16x32_i8 v[128:131], a[4:5], v[100:101], v[128:131]// 00000000D044: D3D70080 0E02C904
	buffer_load_dword v19, v1, s[24:27], 0 offen               // 00000000D04C: E0501000 80061301
	v_mfma_i32_16x16x32_i8 v[128:131], a[6:7], v[102:103], v[128:131]// 00000000D054: D3D70080 0E02CD06
	v_mfma_i32_16x16x32_i8 v[132:135], a[8:9], v[96:97], 0     // 00000000D05C: D3D70084 0A02C108
	buffer_load_dwordx4 a[36:39], v29, s[16:19], 0 offen offset:1024// 00000000D064: E05C1400 8084241D
	v_mfma_i32_16x16x32_i8 v[132:135], a[10:11], v[98:99], v[132:135]// 00000000D06C: D3D70084 0E12C50A
	v_mfma_i32_16x16x32_i8 v[132:135], a[12:13], v[100:101], v[132:135]// 00000000D074: D3D70084 0E12C90C
	v_mfma_i32_16x16x32_i8 v[132:135], a[14:15], v[102:103], v[132:135]// 00000000D07C: D3D70084 0E12CD0E
	v_mfma_i32_16x16x32_i8 v[136:139], a[16:17], v[96:97], 0   // 00000000D084: D3D70088 0A02C110
	buffer_load_dwordx4 a[40:43], v30, s[16:19], 0 offen       // 00000000D08C: E05C1000 8084281E
	v_mfma_i32_16x16x32_i8 v[136:139], a[18:19], v[98:99], v[136:139]// 00000000D094: D3D70088 0E22C512
	v_mfma_i32_16x16x32_i8 v[136:139], a[20:21], v[100:101], v[136:139]// 00000000D09C: D3D70088 0E22C914
	v_mfma_i32_16x16x32_i8 v[136:139], a[22:23], v[102:103], v[136:139]// 00000000D0A4: D3D70088 0E22CD16
	v_mfma_i32_16x16x32_i8 v[140:143], a[24:25], v[96:97], 0   // 00000000D0AC: D3D7008C 0A02C118
	buffer_load_dwordx4 a[44:47], v30, s[16:19], 0 offen offset:1024// 00000000D0B4: E05C1400 80842C1E
	v_mfma_i32_16x16x32_i8 v[140:143], a[26:27], v[98:99], v[140:143]// 00000000D0BC: D3D7008C 0E32C51A
	v_mfma_i32_16x16x32_i8 v[140:143], a[28:29], v[100:101], v[140:143]// 00000000D0C4: D3D7008C 0E32C91C
	v_mfma_i32_16x16x32_i8 v[140:143], a[30:31], v[102:103], v[140:143]// 00000000D0CC: D3D7008C 0E32CD1E
	v_mfma_i32_16x16x32_i8 v[144:147], a[0:1], v[104:105], 0   // 00000000D0D4: D3D70090 0A02D100
	v_mfma_i32_16x16x32_i8 v[144:147], a[2:3], v[106:107], v[144:147]// 00000000D0DC: D3D70090 0E42D502
	v_mfma_i32_16x16x32_i8 v[144:147], a[4:5], v[108:109], v[144:147]// 00000000D0E4: D3D70090 0E42D904
	v_mfma_i32_16x16x32_i8 v[144:147], a[6:7], v[110:111], v[144:147]// 00000000D0EC: D3D70090 0E42DD06
	v_mfma_i32_16x16x32_i8 v[148:151], a[8:9], v[104:105], 0   // 00000000D0F4: D3D70094 0A02D108
	v_mfma_i32_16x16x32_i8 v[148:151], a[10:11], v[106:107], v[148:151]// 00000000D0FC: D3D70094 0E52D50A
	v_mfma_i32_16x16x32_i8 v[148:151], a[12:13], v[108:109], v[148:151]// 00000000D104: D3D70094 0E52D90C
	v_mfma_i32_16x16x32_i8 v[148:151], a[14:15], v[110:111], v[148:151]// 00000000D10C: D3D70094 0E52DD0E
	v_mfma_i32_16x16x32_i8 v[152:155], a[16:17], v[104:105], 0 // 00000000D114: D3D70098 0A02D110
	v_mfma_i32_16x16x32_i8 v[152:155], a[18:19], v[106:107], v[152:155]// 00000000D11C: D3D70098 0E62D512
	v_mfma_i32_16x16x32_i8 v[152:155], a[20:21], v[108:109], v[152:155]// 00000000D124: D3D70098 0E62D914
	v_mfma_i32_16x16x32_i8 v[152:155], a[22:23], v[110:111], v[152:155]// 00000000D12C: D3D70098 0E62DD16
	v_mfma_i32_16x16x32_i8 v[156:159], a[24:25], v[104:105], 0 // 00000000D134: D3D7009C 0A02D118
	v_mfma_i32_16x16x32_i8 v[156:159], a[26:27], v[106:107], v[156:159]// 00000000D13C: D3D7009C 0E72D51A
	v_mfma_i32_16x16x32_i8 v[156:159], a[28:29], v[108:109], v[156:159]// 00000000D144: D3D7009C 0E72D91C
	v_mfma_i32_16x16x32_i8 v[156:159], a[30:31], v[110:111], v[156:159]// 00000000D14C: D3D7009C 0E72DD1E
	buffer_load_dword v53, v3, s[32:35], 0 offen               // 00000000D154: E0501000 80083503
	v_mov_b32_dpp v41, v52 row_shr:4 row_mask:0xf bank_mask:0xf// 00000000D15C: 7E5202FA FF011434
	v_mov_b32_dpp v42, v52 row_shl:4 row_mask:0xf bank_mask:0xf// 00000000D164: 7E5402FA FF010434
	v_cndmask_b32_e64 v248, v52, v41, s[44:45]                 // 00000000D16C: D10000F8 00B25334
	v_cndmask_b32_e64 v249, v42, v52, s[44:45]                 // 00000000D174: D10000F9 00B2692A
	v_mov_b32_dpp v41, v248 row_shr:8 row_mask:0xf bank_mask:0xf// 00000000D17C: 7E5202FA FF0118F8
	v_mov_b32_dpp v42, v248 row_shl:8 row_mask:0xf bank_mask:0xf// 00000000D184: 7E5402FA FF0108F8
	v_mov_b32_dpp v43, v249 row_shr:8 row_mask:0xf bank_mask:0xf// 00000000D18C: 7E5602FA FF0118F9
	v_mov_b32_dpp v44, v249 row_shl:8 row_mask:0xf bank_mask:0xf// 00000000D194: 7E5802FA FF0108F9
	v_mov_b32_e32 v45, v248                                    // 00000000D19C: 7E5A03F8
	v_mov_b32_e32 v46, v249                                    // 00000000D1A0: 7E5C03F9
	v_cndmask_b32_e64 v248, v45, v41, s[42:43]                 // 00000000D1A4: D10000F8 00AA532D
	v_cndmask_b32_e64 v250, v45, v42, s[78:79]                 // 00000000D1AC: D10000FA 013A552D
	v_cndmask_b32_e64 v249, v46, v43, s[42:43]                 // 00000000D1B4: D10000F9 00AA572E
	v_cndmask_b32_e64 v251, v46, v44, s[78:79]                 // 00000000D1BC: D10000FB 013A592E
	v_mov_b32_dpp v41, v72 row_shr:4 row_mask:0xf bank_mask:0xf// 00000000D1C4: 7E5202FA FF011448
	v_mov_b32_dpp v42, v72 row_shl:4 row_mask:0xf bank_mask:0xf// 00000000D1CC: 7E5402FA FF010448
	v_cndmask_b32_e64 v252, v72, v41, s[44:45]                 // 00000000D1D4: D10000FC 00B25348
	v_cndmask_b32_e64 v253, v42, v72, s[44:45]                 // 00000000D1DC: D10000FD 00B2912A
	v_mov_b32_dpp v41, v252 row_shr:8 row_mask:0xf bank_mask:0xf// 00000000D1E4: 7E5202FA FF0118FC
	v_mov_b32_dpp v42, v252 row_shl:8 row_mask:0xf bank_mask:0xf// 00000000D1EC: 7E5402FA FF0108FC
	v_mov_b32_dpp v43, v253 row_shr:8 row_mask:0xf bank_mask:0xf// 00000000D1F4: 7E5602FA FF0118FD
	v_mov_b32_dpp v44, v253 row_shl:8 row_mask:0xf bank_mask:0xf// 00000000D1FC: 7E5802FA FF0108FD
	v_mov_b32_e32 v45, v252                                    // 00000000D204: 7E5A03FC
	v_mov_b32_e32 v46, v253                                    // 00000000D208: 7E5C03FD
	v_cndmask_b32_e64 v252, v45, v41, s[42:43]                 // 00000000D20C: D10000FC 00AA532D
	v_cndmask_b32_e64 v254, v45, v42, s[78:79]                 // 00000000D214: D10000FE 013A552D
	v_cndmask_b32_e64 v253, v46, v43, s[42:43]                 // 00000000D21C: D10000FD 00AA572E
	v_cndmask_b32_e64 v255, v46, v44, s[78:79]                 // 00000000D224: D10000FF 013A592E
	buffer_load_dword v73, v71, s[36:39], 0 offen              // 00000000D22C: E0501000 80094947
	v_cvt_f32_i32_e32 v128, v128                               // 00000000D234: 7F000B80
	v_cvt_f32_i32_e32 v129, v129                               // 00000000D238: 7F020B81
	v_cvt_f32_i32_e32 v130, v130                               // 00000000D23C: 7F040B82
	v_cvt_f32_i32_e32 v131, v131                               // 00000000D240: 7F060B83
	v_cvt_f32_i32_e32 v132, v132                               // 00000000D244: 7F080B84
	v_cvt_f32_i32_e32 v133, v133                               // 00000000D248: 7F0A0B85
	v_cvt_f32_i32_e32 v134, v134                               // 00000000D24C: 7F0C0B86
	v_cvt_f32_i32_e32 v135, v135                               // 00000000D250: 7F0E0B87
	v_cvt_f32_i32_e32 v136, v136                               // 00000000D254: 7F100B88
	v_cvt_f32_i32_e32 v137, v137                               // 00000000D258: 7F120B89
	v_cvt_f32_i32_e32 v138, v138                               // 00000000D25C: 7F140B8A
	v_cvt_f32_i32_e32 v139, v139                               // 00000000D260: 7F160B8B
	v_cvt_f32_i32_e32 v140, v140                               // 00000000D264: 7F180B8C
	v_cvt_f32_i32_e32 v141, v141                               // 00000000D268: 7F1A0B8D
	v_cvt_f32_i32_e32 v142, v142                               // 00000000D26C: 7F1C0B8E
	v_cvt_f32_i32_e32 v143, v143                               // 00000000D270: 7F1E0B8F
	v_mul_f32_e32 v128, v54, v128                              // 00000000D274: 0B010136
	v_mul_f32_e32 v129, v54, v129                              // 00000000D278: 0B030336
	v_mul_f32_e32 v130, v54, v130                              // 00000000D27C: 0B050536
	v_mul_f32_e32 v131, v54, v131                              // 00000000D280: 0B070736
	v_mul_f32_e32 v132, v54, v132                              // 00000000D284: 0B090936
	v_mul_f32_e32 v133, v54, v133                              // 00000000D288: 0B0B0B36
	v_mul_f32_e32 v134, v54, v134                              // 00000000D28C: 0B0D0D36
	v_mul_f32_e32 v135, v54, v135                              // 00000000D290: 0B0F0F36
	v_mul_f32_e32 v136, v54, v136                              // 00000000D294: 0B111136
	v_mul_f32_e32 v137, v54, v137                              // 00000000D298: 0B131336
	v_mul_f32_e32 v138, v54, v138                              // 00000000D29C: 0B151536
	v_mul_f32_e32 v139, v54, v139                              // 00000000D2A0: 0B171736
	v_mul_f32_e32 v140, v54, v140                              // 00000000D2A4: 0B191936
	v_mul_f32_e32 v141, v54, v141                              // 00000000D2A8: 0B1B1B36
	v_mul_f32_e32 v142, v54, v142                              // 00000000D2AC: 0B1D1D36
	v_mul_f32_e32 v143, v54, v143                              // 00000000D2B0: 0B1F1F36
	buffer_load_dwordx4 a[48:51], v31, s[16:19], 0 offen       // 00000000D2B4: E05C1000 8084301F
	v_mul_f32_dpp v128, v248, v128 quad_perm:[0,0,0,0] row_mask:0xf bank_mask:0xf// 00000000D2BC: 0B0100FA FF0000F8
	v_mul_f32_dpp v129, v248, v129 quad_perm:[1,1,1,1] row_mask:0xf bank_mask:0xf// 00000000D2C4: 0B0302FA FF0055F8
	v_mul_f32_dpp v130, v248, v130 quad_perm:[2,2,2,2] row_mask:0xf bank_mask:0xf// 00000000D2CC: 0B0504FA FF00AAF8
	v_mul_f32_dpp v131, v248, v131 quad_perm:[3,3,3,3] row_mask:0xf bank_mask:0xf// 00000000D2D4: 0B0706FA FF00FFF8
	v_mul_f32_dpp v132, v249, v132 quad_perm:[0,0,0,0] row_mask:0xf bank_mask:0xf// 00000000D2DC: 0B0908FA FF0000F9
	v_mul_f32_dpp v133, v249, v133 quad_perm:[1,1,1,1] row_mask:0xf bank_mask:0xf// 00000000D2E4: 0B0B0AFA FF0055F9
	v_mul_f32_dpp v134, v249, v134 quad_perm:[2,2,2,2] row_mask:0xf bank_mask:0xf// 00000000D2EC: 0B0D0CFA FF00AAF9
	v_mul_f32_dpp v135, v249, v135 quad_perm:[3,3,3,3] row_mask:0xf bank_mask:0xf// 00000000D2F4: 0B0F0EFA FF00FFF9
	v_mul_f32_dpp v136, v250, v136 quad_perm:[0,0,0,0] row_mask:0xf bank_mask:0xf// 00000000D2FC: 0B1110FA FF0000FA
	v_mul_f32_dpp v137, v250, v137 quad_perm:[1,1,1,1] row_mask:0xf bank_mask:0xf// 00000000D304: 0B1312FA FF0055FA
	v_mul_f32_dpp v138, v250, v138 quad_perm:[2,2,2,2] row_mask:0xf bank_mask:0xf// 00000000D30C: 0B1514FA FF00AAFA
	v_mul_f32_dpp v139, v250, v139 quad_perm:[3,3,3,3] row_mask:0xf bank_mask:0xf// 00000000D314: 0B1716FA FF00FFFA
	v_mul_f32_dpp v140, v251, v140 quad_perm:[0,0,0,0] row_mask:0xf bank_mask:0xf// 00000000D31C: 0B1918FA FF0000FB
	v_mul_f32_dpp v141, v251, v141 quad_perm:[1,1,1,1] row_mask:0xf bank_mask:0xf// 00000000D324: 0B1B1AFA FF0055FB
	v_mul_f32_dpp v142, v251, v142 quad_perm:[2,2,2,2] row_mask:0xf bank_mask:0xf// 00000000D32C: 0B1D1CFA FF00AAFB
	v_mul_f32_dpp v143, v251, v143 quad_perm:[3,3,3,3] row_mask:0xf bank_mask:0xf// 00000000D334: 0B1F1EFA FF00FFFB
	buffer_load_dwordx4 a[52:55], v31, s[16:19], 0 offen offset:1024// 00000000D33C: E05C1400 8084341F
	v_mov_b32_e32 v62, v128                                    // 00000000D344: 7E7C0380
	v_max3_f32 v62, v128, v129, v62                            // 00000000D348: D1D3003E 04FB0380
	v_max3_f32 v62, v130, v131, v62                            // 00000000D350: D1D3003E 04FB0782
	v_max3_f32 v62, v132, v133, v62                            // 00000000D358: D1D3003E 04FB0B84
	v_max3_f32 v62, v134, v135, v62                            // 00000000D360: D1D3003E 04FB0F86
	v_max3_f32 v62, v136, v137, v62                            // 00000000D368: D1D3003E 04FB1388
	v_max3_f32 v62, v138, v139, v62                            // 00000000D370: D1D3003E 04FB178A
	v_max3_f32 v62, v140, v141, v62                            // 00000000D378: D1D3003E 04FB1B8C
	v_max3_f32 v62, v142, v143, v62                            // 00000000D380: D1D3003E 04FB1F8E
	ds_write_b32 v11, v62 offset:16896                         // 00000000D388: D81A4200 00003E0B
	buffer_load_dwordx4 a[56:59], v32, s[16:19], 0 offen       // 00000000D390: E05C1000 80843820
	v_mul_u32_u24_dpp v41, v20, v68 row_newbcast:1 row_mask:0xf bank_mask:0xf// 00000000D398: 105288FA FF015114
	v_mul_u32_u24_dpp v42, v20, v68 row_newbcast:5 row_mask:0xf bank_mask:0xf// 00000000D3A0: 105488FA FF015514
	v_mul_u32_u24_dpp v43, v20, v68 row_newbcast:9 row_mask:0xf bank_mask:0xf// 00000000D3A8: 105688FA FF015914
	v_mul_u32_u24_dpp v44, v20, v68 row_newbcast:13 row_mask:0xf bank_mask:0xf// 00000000D3B0: 105888FA FF015D14
	v_add_u32_e32 v37, v41, v7                                 // 00000000D3B8: 684A0F29
	v_add_u32_e32 v38, v42, v7                                 // 00000000D3BC: 684C0F2A
	v_add_u32_e32 v39, v43, v7                                 // 00000000D3C0: 684E0F2B
	v_add_u32_e32 v40, v44, v7                                 // 00000000D3C4: 68500F2C
	v_mul_f32_e32 v224, v63, v224                              // 00000000D3C8: 0BC1C13F
	v_mul_f32_e32 v225, v63, v225                              // 00000000D3CC: 0BC3C33F
	v_mul_f32_e32 v226, v63, v226                              // 00000000D3D0: 0BC5C53F
	v_mul_f32_e32 v227, v63, v227                              // 00000000D3D4: 0BC7C73F
	v_mul_f32_e32 v228, v63, v228                              // 00000000D3D8: 0BC9C93F
	v_mul_f32_e32 v229, v63, v229                              // 00000000D3DC: 0BCBCB3F
	v_mul_f32_e32 v230, v63, v230                              // 00000000D3E0: 0BCDCD3F
	v_mul_f32_e32 v231, v63, v231                              // 00000000D3E4: 0BCFCF3F
	s_waitcnt lgkmcnt(0)                                       // 00000000D3E8: BF8CC07F
	s_barrier                                                  // 00000000D3EC: BF8A0000
	ds_read_b32 v80, v10 offset:16896                          // 00000000D3F0: D86C4200 5000000A
	ds_read_b32 v81, v10 offset:16960                          // 00000000D3F8: D86C4240 5100000A
	ds_read_b32 v82, v10 offset:17024                          // 00000000D400: D86C4280 5200000A
	ds_read_b32 v83, v10 offset:17088                          // 00000000D408: D86C42C0 5300000A
	ds_read_b32 v84, v10 offset:17152                          // 00000000D410: D86C4300 5400000A
	ds_read_b32 v85, v10 offset:17216                          // 00000000D418: D86C4340 5500000A
	ds_read_b32 v86, v10 offset:17280                          // 00000000D420: D86C4380 5600000A
	ds_read_b32 v87, v10 offset:17344                          // 00000000D428: D86C43C0 5700000A
	ds_read_b32 v88, v10 offset:17408                          // 00000000D430: D86C4400 5800000A
	ds_read_b32 v89, v10 offset:17472                          // 00000000D438: D86C4440 5900000A
	ds_read_b32 v90, v10 offset:17536                          // 00000000D440: D86C4480 5A00000A
	ds_read_b32 v91, v10 offset:17600                          // 00000000D448: D86C44C0 5B00000A
	ds_read_b32 v92, v10 offset:17664                          // 00000000D450: D86C4500 5C00000A
	ds_read_b32 v93, v10 offset:17728                          // 00000000D458: D86C4540 5D00000A
	ds_read_b32 v94, v10 offset:17792                          // 00000000D460: D86C4580 5E00000A
	ds_read_b32 v95, v10 offset:17856                          // 00000000D468: D86C45C0 5F00000A
	buffer_load_dwordx4 a[60:63], v32, s[16:19], 0 offen offset:1024// 00000000D470: E05C1400 80843C20
	v_cvt_f32_i32_e32 v192, v192                               // 00000000D478: 7F800BC0
	v_cvt_f32_i32_e32 v193, v193                               // 00000000D47C: 7F820BC1
	v_cvt_f32_i32_e32 v194, v194                               // 00000000D480: 7F840BC2
	v_cvt_f32_i32_e32 v195, v195                               // 00000000D484: 7F860BC3
	v_cvt_f32_i32_e32 v196, v196                               // 00000000D488: 7F880BC4
	v_cvt_f32_i32_e32 v197, v197                               // 00000000D48C: 7F8A0BC5
	v_cvt_f32_i32_e32 v198, v198                               // 00000000D490: 7F8C0BC6
	v_cvt_f32_i32_e32 v199, v199                               // 00000000D494: 7F8E0BC7
	v_mul_f32_e32 v192, v58, v192                              // 00000000D498: 0B81813A
	v_mul_f32_e32 v193, v58, v193                              // 00000000D49C: 0B83833A
	v_mul_f32_e32 v194, v58, v194                              // 00000000D4A0: 0B85853A
	v_mul_f32_e32 v195, v58, v195                              // 00000000D4A4: 0B87873A
	v_mul_f32_e32 v196, v58, v196                              // 00000000D4A8: 0B89893A
	v_mul_f32_e32 v197, v58, v197                              // 00000000D4AC: 0B8B8B3A
	v_mul_f32_e32 v198, v58, v198                              // 00000000D4B0: 0B8D8D3A
	v_mul_f32_e32 v199, v58, v199                              // 00000000D4B4: 0B8F8F3A
	s_waitcnt lgkmcnt(0)                                       // 00000000D4B8: BF8CC07F
	v_max3_f32 v62, v80, v81, v62                              // 00000000D4BC: D1D3003E 04FAA350
	v_max3_f32 v62, v82, v83, v62                              // 00000000D4C4: D1D3003E 04FAA752
	v_max3_f32 v62, v84, v85, v62                              // 00000000D4CC: D1D3003E 04FAAB54
	v_max3_f32 v62, v86, v87, v62                              // 00000000D4D4: D1D3003E 04FAAF56
	v_max3_f32 v62, v88, v89, v62                              // 00000000D4DC: D1D3003E 04FAB358
	v_max3_f32 v62, v90, v91, v62                              // 00000000D4E4: D1D3003E 04FAB75A
	v_max3_f32 v62, v92, v93, v62                              // 00000000D4EC: D1D3003E 04FABB5C
	v_max3_f32 v62, v94, v95, v62                              // 00000000D4F4: D1D3003E 04FABF5E
	buffer_load_dwordx4 a[96:99], v37, s[20:23], 0 offen       // 00000000D4FC: E05C1000 80856025
	v_mov_b32_e32 v41, 0xff800000                              // 00000000D504: 7E5202FF FF800000
	v_cmp_eq_u32_e64 s[40:41], v41, v14                        // 00000000D50C: D0CA0028 00021D29
	s_nop 1                                                    // 00000000D514: BF800001
	v_max_f32_e32 v18, v62, v14                                // 00000000D518: 16241D3E
	v_mul_f32_e32 v67, s64, v18                                // 00000000D51C: 0A862440
	v_fma_f32 v128, v128, s64, -v67                            // 00000000D520: D1CB0080 850C8180
	v_fma_f32 v129, v129, s64, -v67                            // 00000000D528: D1CB0081 850C8181
	v_fma_f32 v130, v130, s64, -v67                            // 00000000D530: D1CB0082 850C8182
	v_fma_f32 v131, v131, s64, -v67                            // 00000000D538: D1CB0083 850C8183
	v_fma_f32 v132, v132, s64, -v67                            // 00000000D540: D1CB0084 850C8184
	v_fma_f32 v133, v133, s64, -v67                            // 00000000D548: D1CB0085 850C8185
	v_fma_f32 v134, v134, s64, -v67                            // 00000000D550: D1CB0086 850C8186
	v_fma_f32 v135, v135, s64, -v67                            // 00000000D558: D1CB0087 850C8187
	v_fma_f32 v136, v136, s64, -v67                            // 00000000D560: D1CB0088 850C8188
	v_fma_f32 v137, v137, s64, -v67                            // 00000000D568: D1CB0089 850C8189
	v_fma_f32 v138, v138, s64, -v67                            // 00000000D570: D1CB008A 850C818A
	v_fma_f32 v139, v139, s64, -v67                            // 00000000D578: D1CB008B 850C818B
	v_fma_f32 v140, v140, s64, -v67                            // 00000000D580: D1CB008C 850C818C
	v_fma_f32 v141, v141, s64, -v67                            // 00000000D588: D1CB008D 850C818D
	v_fma_f32 v142, v142, s64, -v67                            // 00000000D590: D1CB008E 850C818E
	v_fma_f32 v143, v143, s64, -v67                            // 00000000D598: D1CB008F 850C818F
	buffer_load_dwordx4 a[100:103], v38, s[20:23], 0 offen     // 00000000D5A0: E05C1000 80856426
	v_exp_f32_e32 v128, v128                                   // 00000000D5A8: 7F004180
	v_exp_f32_e32 v129, v129                                   // 00000000D5AC: 7F024181
	v_exp_f32_e32 v130, v130                                   // 00000000D5B0: 7F044182
	v_exp_f32_e32 v131, v131                                   // 00000000D5B4: 7F064183
	v_exp_f32_e32 v132, v132                                   // 00000000D5B8: 7F084184
	v_exp_f32_e32 v133, v133                                   // 00000000D5BC: 7F0A4185
	v_exp_f32_e32 v134, v134                                   // 00000000D5C0: 7F0C4186
	v_exp_f32_e32 v135, v135                                   // 00000000D5C4: 7F0E4187
	v_exp_f32_e32 v136, v136                                   // 00000000D5C8: 7F104188
	v_exp_f32_e32 v137, v137                                   // 00000000D5CC: 7F124189
	v_exp_f32_e32 v138, v138                                   // 00000000D5D0: 7F14418A
	v_exp_f32_e32 v139, v139                                   // 00000000D5D4: 7F16418B
	v_exp_f32_e32 v140, v140                                   // 00000000D5D8: 7F18418C
	v_exp_f32_e32 v141, v141                                   // 00000000D5DC: 7F1A418D
	v_exp_f32_e32 v142, v142                                   // 00000000D5E0: 7F1C418E
	v_exp_f32_e32 v143, v143                                   // 00000000D5E4: 7F1E418F
	buffer_load_dwordx4 a[104:107], v39, s[20:23], 0 offen     // 00000000D5E8: E05C1000 80856827
	v_mul_f32_dpp v240, v252, v128 quad_perm:[0,0,0,0] row_mask:0xf bank_mask:0xf// 00000000D5F0: 0BE100FA FF0000FC
	v_mul_f32_dpp v241, v252, v129 quad_perm:[1,1,1,1] row_mask:0xf bank_mask:0xf// 00000000D5F8: 0BE302FA FF0055FC
	v_mul_f32_dpp v242, v252, v130 quad_perm:[2,2,2,2] row_mask:0xf bank_mask:0xf// 00000000D600: 0BE504FA FF00AAFC
	v_mul_f32_dpp v243, v252, v131 quad_perm:[3,3,3,3] row_mask:0xf bank_mask:0xf// 00000000D608: 0BE706FA FF00FFFC
	v_mul_f32_dpp v244, v253, v132 quad_perm:[0,0,0,0] row_mask:0xf bank_mask:0xf// 00000000D610: 0BE908FA FF0000FD
	v_mul_f32_dpp v245, v253, v133 quad_perm:[1,1,1,1] row_mask:0xf bank_mask:0xf// 00000000D618: 0BEB0AFA FF0055FD
	v_mul_f32_dpp v246, v253, v134 quad_perm:[2,2,2,2] row_mask:0xf bank_mask:0xf// 00000000D620: 0BED0CFA FF00AAFD
	v_mul_f32_dpp v247, v253, v135 quad_perm:[3,3,3,3] row_mask:0xf bank_mask:0xf// 00000000D628: 0BEF0EFA FF00FFFD
	v_mul_f32_dpp v248, v254, v136 quad_perm:[0,0,0,0] row_mask:0xf bank_mask:0xf// 00000000D630: 0BF110FA FF0000FE
	v_mul_f32_dpp v249, v254, v137 quad_perm:[1,1,1,1] row_mask:0xf bank_mask:0xf// 00000000D638: 0BF312FA FF0055FE
	v_mul_f32_dpp v250, v254, v138 quad_perm:[2,2,2,2] row_mask:0xf bank_mask:0xf// 00000000D640: 0BF514FA FF00AAFE
	v_mul_f32_dpp v251, v254, v139 quad_perm:[3,3,3,3] row_mask:0xf bank_mask:0xf// 00000000D648: 0BF716FA FF00FFFE
	v_mul_f32_dpp v252, v255, v140 quad_perm:[0,0,0,0] row_mask:0xf bank_mask:0xf// 00000000D650: 0BF918FA FF0000FF
	v_mul_f32_dpp v253, v255, v141 quad_perm:[1,1,1,1] row_mask:0xf bank_mask:0xf// 00000000D658: 0BFB1AFA FF0055FF
	v_mul_f32_dpp v254, v255, v142 quad_perm:[2,2,2,2] row_mask:0xf bank_mask:0xf// 00000000D660: 0BFD1CFA FF00AAFF
	v_mul_f32_dpp v255, v255, v143 quad_perm:[3,3,3,3] row_mask:0xf bank_mask:0xf// 00000000D668: 0BFF1EFA FF00FFFF
	v_mov_b32_e32 v62, 0x358637bd                              // 00000000D670: 7E7C02FF 358637BD
	v_max3_f32 v62, |v240|, |v241|, v62                        // 00000000D678: D1D3033E 04FBE3F0
	v_max3_f32 v62, |v242|, |v243|, v62                        // 00000000D680: D1D3033E 04FBE7F2
	v_max3_f32 v62, |v244|, |v245|, v62                        // 00000000D688: D1D3033E 04FBEBF4
	v_max3_f32 v62, |v246|, |v247|, v62                        // 00000000D690: D1D3033E 04FBEFF6
	v_max3_f32 v62, |v248|, |v249|, v62                        // 00000000D698: D1D3033E 04FBF3F8
	v_max3_f32 v62, |v250|, |v251|, v62                        // 00000000D6A0: D1D3033E 04FBF7FA
	v_max3_f32 v62, |v252|, |v253|, v62                        // 00000000D6A8: D1D3033E 04FBFBFC
	v_max3_f32 v62, |v254|, |v255|, v62                        // 00000000D6B0: D1D3033E 04FBFFFE
	buffer_load_dwordx4 a[108:111], v40, s[20:23], 0 offen     // 00000000D6B8: E05C1000 80856C28
	ds_write_b32 v11, v62 offset:20992                         // 00000000D6C0: D81A5200 00003E0B
	v_sub_f32_e32 v63, v14, v18                                // 00000000D6C8: 047E250E
	v_cndmask_b32_e64 v63, v63, 0, s[40:41]                    // 00000000D6CC: D100003F 00A1013F
	v_mov_b32_e32 v14, v18                                     // 00000000D6D4: 7E1C0312
	v_mul_f32_e32 v63, s64, v63                                // 00000000D6D8: 0A7E7E40
	v_exp_f32_e32 v63, v63                                     // 00000000D6DC: 7E7E413F
	s_waitcnt lgkmcnt(0)                                       // 00000000D6E0: BF8CC07F
	s_barrier                                                  // 00000000D6E4: BF8A0000
	ds_read_b32 v80, v10 offset:20992                          // 00000000D6E8: D86C5200 5000000A
	ds_read_b32 v81, v10 offset:21056                          // 00000000D6F0: D86C5240 5100000A
	ds_read_b32 v82, v10 offset:21120                          // 00000000D6F8: D86C5280 5200000A
	ds_read_b32 v83, v10 offset:21184                          // 00000000D700: D86C52C0 5300000A
	ds_read_b32 v84, v10 offset:21248                          // 00000000D708: D86C5300 5400000A
	ds_read_b32 v85, v10 offset:21312                          // 00000000D710: D86C5340 5500000A
	ds_read_b32 v86, v10 offset:21376                          // 00000000D718: D86C5380 5600000A
	ds_read_b32 v87, v10 offset:21440                          // 00000000D720: D86C53C0 5700000A
	ds_read_b32 v88, v10 offset:21504                          // 00000000D728: D86C5400 5800000A
	ds_read_b32 v89, v10 offset:21568                          // 00000000D730: D86C5440 5900000A
	ds_read_b32 v90, v10 offset:21632                          // 00000000D738: D86C5480 5A00000A
	ds_read_b32 v91, v10 offset:21696                          // 00000000D740: D86C54C0 5B00000A
	ds_read_b32 v92, v10 offset:21760                          // 00000000D748: D86C5500 5C00000A
	ds_read_b32 v93, v10 offset:21824                          // 00000000D750: D86C5540 5D00000A
	ds_read_b32 v94, v10 offset:21888                          // 00000000D758: D86C5580 5E00000A
	ds_read_b32 v95, v10 offset:21952                          // 00000000D760: D86C55C0 5F00000A
	v_mul_f32_e32 v47, v63, v47                                // 00000000D768: 0A5E5F3F
	v_mov_b32_e32 v18, v128                                    // 00000000D76C: 7E240380
	v_add_f32_e32 v18, v129, v18                               // 00000000D770: 02242581
	v_add_f32_e32 v18, v130, v18                               // 00000000D774: 02242582
	v_add_f32_e32 v18, v131, v18                               // 00000000D778: 02242583
	v_add_f32_e32 v18, v132, v18                               // 00000000D77C: 02242584
	v_add_f32_e32 v18, v133, v18                               // 00000000D780: 02242585
	v_add_f32_e32 v18, v134, v18                               // 00000000D784: 02242586
	v_add_f32_e32 v18, v135, v18                               // 00000000D788: 02242587
	v_add_f32_e32 v18, v136, v18                               // 00000000D78C: 02242588
	v_add_f32_e32 v18, v137, v18                               // 00000000D790: 02242589
	v_add_f32_e32 v18, v138, v18                               // 00000000D794: 0224258A
	v_add_f32_e32 v18, v139, v18                               // 00000000D798: 0224258B
	v_add_f32_e32 v18, v140, v18                               // 00000000D79C: 0224258C
	v_add_f32_e32 v18, v141, v18                               // 00000000D7A0: 0224258D
	v_add_f32_e32 v18, v142, v18                               // 00000000D7A4: 0224258E
	v_add_f32_e32 v18, v143, v18                               // 00000000D7A8: 0224258F
	v_add_f32_e32 v47, v18, v47                                // 00000000D7AC: 025E5F12
	s_waitcnt lgkmcnt(0)                                       // 00000000D7B0: BF8CC07F
	v_max3_f32 v62, |v80|, |v81|, v62                          // 00000000D7B4: D1D3033E 04FAA350
	v_max3_f32 v62, |v82|, |v83|, v62                          // 00000000D7BC: D1D3033E 04FAA752
	v_max3_f32 v62, |v84|, |v85|, v62                          // 00000000D7C4: D1D3033E 04FAAB54
	v_max3_f32 v62, |v86|, |v87|, v62                          // 00000000D7CC: D1D3033E 04FAAF56
	v_max3_f32 v62, |v88|, |v89|, v62                          // 00000000D7D4: D1D3033E 04FAB358
	v_max3_f32 v62, |v90|, |v91|, v62                          // 00000000D7DC: D1D3033E 04FAB75A
	v_max3_f32 v62, |v92|, |v93|, v62                          // 00000000D7E4: D1D3033E 04FABB5C
	v_max3_f32 v62, |v94|, |v95|, v62                          // 00000000D7EC: D1D3033E 04FABF5E
	s_nop 2                                                    // 00000000D7F4: BF800002
	v_rcp_f32_e32 v62, v62                                     // 00000000D7F8: 7E7C453E
	s_nop 1                                                    // 00000000D7FC: BF800001
	v_mul_f32_e32 v62, 0x42fe0000, v62                         // 00000000D800: 0A7C7CFF 42FE0000
	v_mul_f32_e32 v128, v62, v240                              // 00000000D808: 0B01E13E
	v_mul_f32_e32 v129, v62, v241                              // 00000000D80C: 0B03E33E
	v_mul_f32_e32 v130, v62, v242                              // 00000000D810: 0B05E53E
	v_mul_f32_e32 v131, v62, v243                              // 00000000D814: 0B07E73E
	v_mul_f32_e32 v132, v62, v244                              // 00000000D818: 0B09E93E
	v_mul_f32_e32 v133, v62, v245                              // 00000000D81C: 0B0BEB3E
	v_mul_f32_e32 v134, v62, v246                              // 00000000D820: 0B0DED3E
	v_mul_f32_e32 v135, v62, v247                              // 00000000D824: 0B0FEF3E
	v_mul_f32_e32 v136, v62, v248                              // 00000000D828: 0B11F13E
	v_mul_f32_e32 v137, v62, v249                              // 00000000D82C: 0B13F33E
	v_mul_f32_e32 v138, v62, v250                              // 00000000D830: 0B15F53E
	v_mul_f32_e32 v139, v62, v251                              // 00000000D834: 0B17F73E
	v_mul_f32_e32 v140, v62, v252                              // 00000000D838: 0B19F93E
	v_mul_f32_e32 v141, v62, v253                              // 00000000D83C: 0B1BFB3E
	v_mul_f32_e32 v142, v62, v254                              // 00000000D840: 0B1DFD3E
	v_mul_f32_e32 v143, v62, v255                              // 00000000D844: 0B1FFF3E
	v_cvt_i32_f32_e32 v128, v128                               // 00000000D848: 7F001180
	v_cvt_i32_f32_e32 v129, v129                               // 00000000D84C: 7F021181
	v_cvt_i32_f32_e32 v130, v130                               // 00000000D850: 7F041182
	v_cvt_i32_f32_e32 v131, v131                               // 00000000D854: 7F061183
	v_cvt_i32_f32_e32 v132, v132                               // 00000000D858: 7F081184
	v_cvt_i32_f32_e32 v133, v133                               // 00000000D85C: 7F0A1185
	v_cvt_i32_f32_e32 v134, v134                               // 00000000D860: 7F0C1186
	v_cvt_i32_f32_e32 v135, v135                               // 00000000D864: 7F0E1187
	v_cvt_i32_f32_e32 v136, v136                               // 00000000D868: 7F101188
	v_cvt_i32_f32_e32 v137, v137                               // 00000000D86C: 7F121189
	v_cvt_i32_f32_e32 v138, v138                               // 00000000D870: 7F14118A
	v_cvt_i32_f32_e32 v139, v139                               // 00000000D874: 7F16118B
	v_cvt_i32_f32_e32 v140, v140                               // 00000000D878: 7F18118C
	v_cvt_i32_f32_e32 v141, v141                               // 00000000D87C: 7F1A118D
	v_cvt_i32_f32_e32 v142, v142                               // 00000000D880: 7F1C118E
	v_cvt_i32_f32_e32 v143, v143                               // 00000000D884: 7F1E118F
	v_perm_b32 v128, v129, v128, s53                           // 00000000D888: D1ED0080 00D70181
	v_perm_b32 v128, v130, v128, s54                           // 00000000D890: D1ED0080 00DB0182
	v_perm_b32 v128, v131, v128, s55                           // 00000000D898: D1ED0080 00DF0183
	v_perm_b32 v129, v133, v132, s53                           // 00000000D8A0: D1ED0081 00D70985
	v_perm_b32 v129, v134, v129, s54                           // 00000000D8A8: D1ED0081 00DB0386
	v_perm_b32 v129, v135, v129, s55                           // 00000000D8B0: D1ED0081 00DF0387
	v_perm_b32 v130, v137, v136, s53                           // 00000000D8B8: D1ED0082 00D71189
	v_perm_b32 v130, v138, v130, s54                           // 00000000D8C0: D1ED0082 00DB058A
	v_perm_b32 v130, v139, v130, s55                           // 00000000D8C8: D1ED0082 00DF058B
	v_perm_b32 v131, v141, v140, s53                           // 00000000D8D0: D1ED0083 00D7198D
	v_perm_b32 v131, v142, v131, s54                           // 00000000D8D8: D1ED0083 00DB078E
	v_perm_b32 v131, v143, v131, s55                           // 00000000D8E0: D1ED0083 00DF078F
	ds_write_b32 v13, v128 offset:25088                        // 00000000D8E8: D81A6200 0000800D
	ds_write_b32 v13, v129 offset:26112                        // 00000000D8F0: D81A6600 0000810D
	ds_write_b32 v13, v130 offset:27136                        // 00000000D8F8: D81A6A00 0000820D
	ds_write_b32 v13, v131 offset:28160                        // 00000000D900: D81A6E00 0000830D
	v_add_f32_e32 v224, v224, v192                             // 00000000D908: 03C181E0
	v_add_f32_e32 v225, v225, v193                             // 00000000D90C: 03C383E1
	v_add_f32_e32 v226, v226, v194                             // 00000000D910: 03C585E2
	v_add_f32_e32 v227, v227, v195                             // 00000000D914: 03C787E3
	v_add_f32_e32 v228, v228, v196                             // 00000000D918: 03C989E4
	v_add_f32_e32 v229, v229, v197                             // 00000000D91C: 03CB8BE5
	v_add_f32_e32 v230, v230, v198                             // 00000000D920: 03CD8DE6
	v_add_f32_e32 v231, v231, v199                             // 00000000D924: 03CF8FE7
	v_rcp_f32_e32 v58, v62                                     // 00000000D928: 7E74453E
	s_waitcnt lgkmcnt(0)                                       // 00000000D92C: BF8CC07F
	s_barrier                                                  // 00000000D930: BF8A0000
	ds_read_b64 v[128:129], v12 offset:25088                   // 00000000D934: D8EC6200 8000000C
	ds_read_b64 v[130:131], v12 offset:25216                   // 00000000D93C: D8EC6280 8200000C
	ds_read_b64 v[132:133], v12 offset:26112                   // 00000000D944: D8EC6600 8400000C
	ds_read_b64 v[134:135], v12 offset:26240                   // 00000000D94C: D8EC6680 8600000C
	ds_read_b64 v[136:137], v12 offset:27136                   // 00000000D954: D8EC6A00 8800000C
	ds_read_b64 v[138:139], v12 offset:27264                   // 00000000D95C: D8EC6A80 8A00000C
	ds_read_b64 v[140:141], v12 offset:28160                   // 00000000D964: D8EC6E00 8C00000C
	ds_read_b64 v[142:143], v12 offset:28288                   // 00000000D96C: D8EC6E80 8E00000C
	v_mov_b32_dpp v41, v52 row_shr:4 row_mask:0xf bank_mask:0xf// 00000000D974: 7E5202FA FF011434
	v_mov_b32_dpp v42, v52 row_shl:4 row_mask:0xf bank_mask:0xf// 00000000D97C: 7E5402FA FF010434
	v_cndmask_b32_e64 v248, v52, v41, s[44:45]                 // 00000000D984: D10000F8 00B25334
	v_cndmask_b32_e64 v249, v42, v52, s[44:45]                 // 00000000D98C: D10000F9 00B2692A
	v_mov_b32_dpp v41, v248 row_shr:8 row_mask:0xf bank_mask:0xf// 00000000D994: 7E5202FA FF0118F8
	v_mov_b32_dpp v42, v248 row_shl:8 row_mask:0xf bank_mask:0xf// 00000000D99C: 7E5402FA FF0108F8
	v_mov_b32_dpp v43, v249 row_shr:8 row_mask:0xf bank_mask:0xf// 00000000D9A4: 7E5602FA FF0118F9
	v_mov_b32_dpp v44, v249 row_shl:8 row_mask:0xf bank_mask:0xf// 00000000D9AC: 7E5802FA FF0108F9
	v_mov_b32_e32 v45, v248                                    // 00000000D9B4: 7E5A03F8
	v_mov_b32_e32 v46, v249                                    // 00000000D9B8: 7E5C03F9
	v_cndmask_b32_e64 v248, v45, v41, s[42:43]                 // 00000000D9BC: D10000F8 00AA532D
	v_cndmask_b32_e64 v250, v45, v42, s[78:79]                 // 00000000D9C4: D10000FA 013A552D
	v_cndmask_b32_e64 v249, v46, v43, s[42:43]                 // 00000000D9CC: D10000F9 00AA572E
	v_cndmask_b32_e64 v251, v46, v44, s[78:79]                 // 00000000D9D4: D10000FB 013A592E
	v_mov_b32_dpp v41, v72 row_shr:4 row_mask:0xf bank_mask:0xf// 00000000D9DC: 7E5202FA FF011448
	v_mov_b32_dpp v42, v72 row_shl:4 row_mask:0xf bank_mask:0xf// 00000000D9E4: 7E5402FA FF010448
	v_cndmask_b32_e64 v252, v72, v41, s[44:45]                 // 00000000D9EC: D10000FC 00B25348
	v_cndmask_b32_e64 v253, v42, v72, s[44:45]                 // 00000000D9F4: D10000FD 00B2912A
	v_mov_b32_dpp v41, v252 row_shr:8 row_mask:0xf bank_mask:0xf// 00000000D9FC: 7E5202FA FF0118FC
	v_mov_b32_dpp v42, v252 row_shl:8 row_mask:0xf bank_mask:0xf// 00000000DA04: 7E5402FA FF0108FC
	v_mov_b32_dpp v43, v253 row_shr:8 row_mask:0xf bank_mask:0xf// 00000000DA0C: 7E5602FA FF0118FD
	v_mov_b32_dpp v44, v253 row_shl:8 row_mask:0xf bank_mask:0xf// 00000000DA14: 7E5802FA FF0108FD
	v_mov_b32_e32 v45, v252                                    // 00000000DA1C: 7E5A03FC
	v_mov_b32_e32 v46, v253                                    // 00000000DA20: 7E5C03FD
	v_cndmask_b32_e64 v252, v45, v41, s[42:43]                 // 00000000DA24: D10000FC 00AA532D
	v_cndmask_b32_e64 v254, v45, v42, s[78:79]                 // 00000000DA2C: D10000FE 013A552D
	v_cndmask_b32_e64 v253, v46, v43, s[42:43]                 // 00000000DA34: D10000FD 00AA572E
	v_cndmask_b32_e64 v255, v46, v44, s[78:79]                 // 00000000DA3C: D10000FF 013A592E
	v_cvt_f32_i32_e32 v144, v144                               // 00000000DA44: 7F200B90
	v_cvt_f32_i32_e32 v145, v145                               // 00000000DA48: 7F220B91
	v_cvt_f32_i32_e32 v146, v146                               // 00000000DA4C: 7F240B92
	v_cvt_f32_i32_e32 v147, v147                               // 00000000DA50: 7F260B93
	v_cvt_f32_i32_e32 v148, v148                               // 00000000DA54: 7F280B94
	v_cvt_f32_i32_e32 v149, v149                               // 00000000DA58: 7F2A0B95
	v_cvt_f32_i32_e32 v150, v150                               // 00000000DA5C: 7F2C0B96
	v_cvt_f32_i32_e32 v151, v151                               // 00000000DA60: 7F2E0B97
	v_cvt_f32_i32_e32 v152, v152                               // 00000000DA64: 7F300B98
	v_cvt_f32_i32_e32 v153, v153                               // 00000000DA68: 7F320B99
	v_cvt_f32_i32_e32 v154, v154                               // 00000000DA6C: 7F340B9A
	v_cvt_f32_i32_e32 v155, v155                               // 00000000DA70: 7F360B9B
	v_cvt_f32_i32_e32 v156, v156                               // 00000000DA74: 7F380B9C
	v_cvt_f32_i32_e32 v157, v157                               // 00000000DA78: 7F3A0B9D
	v_cvt_f32_i32_e32 v158, v158                               // 00000000DA7C: 7F3C0B9E
	v_cvt_f32_i32_e32 v159, v159                               // 00000000DA80: 7F3E0B9F
	v_mul_f32_e32 v144, v55, v144                              // 00000000DA84: 0B212137
	v_mul_f32_e32 v145, v55, v145                              // 00000000DA88: 0B232337
	v_mul_f32_e32 v146, v55, v146                              // 00000000DA8C: 0B252537
	v_mul_f32_e32 v147, v55, v147                              // 00000000DA90: 0B272737
	v_mul_f32_e32 v148, v55, v148                              // 00000000DA94: 0B292937
	v_mul_f32_e32 v149, v55, v149                              // 00000000DA98: 0B2B2B37
	v_mul_f32_e32 v150, v55, v150                              // 00000000DA9C: 0B2D2D37
	v_mul_f32_e32 v151, v55, v151                              // 00000000DAA0: 0B2F2F37
	v_mul_f32_e32 v152, v55, v152                              // 00000000DAA4: 0B313137
	v_mul_f32_e32 v153, v55, v153                              // 00000000DAA8: 0B333337
	v_mul_f32_e32 v154, v55, v154                              // 00000000DAAC: 0B353537
	v_mul_f32_e32 v155, v55, v155                              // 00000000DAB0: 0B373737
	v_mul_f32_e32 v156, v55, v156                              // 00000000DAB4: 0B393937
	v_mul_f32_e32 v157, v55, v157                              // 00000000DAB8: 0B3B3B37
	v_mul_f32_e32 v158, v55, v158                              // 00000000DABC: 0B3D3D37
	v_mul_f32_e32 v159, v55, v159                              // 00000000DAC0: 0B3F3F37
	v_mul_f32_dpp v144, v248, v144 quad_perm:[0,0,0,0] row_mask:0xf bank_mask:0xf// 00000000DAC4: 0B2120FA FF0000F8
	v_mul_f32_dpp v145, v248, v145 quad_perm:[1,1,1,1] row_mask:0xf bank_mask:0xf// 00000000DACC: 0B2322FA FF0055F8
	v_mul_f32_dpp v146, v248, v146 quad_perm:[2,2,2,2] row_mask:0xf bank_mask:0xf// 00000000DAD4: 0B2524FA FF00AAF8
	v_mul_f32_dpp v147, v248, v147 quad_perm:[3,3,3,3] row_mask:0xf bank_mask:0xf// 00000000DADC: 0B2726FA FF00FFF8
	v_mul_f32_dpp v148, v249, v148 quad_perm:[0,0,0,0] row_mask:0xf bank_mask:0xf// 00000000DAE4: 0B2928FA FF0000F9
	v_mul_f32_dpp v149, v249, v149 quad_perm:[1,1,1,1] row_mask:0xf bank_mask:0xf// 00000000DAEC: 0B2B2AFA FF0055F9
	v_mul_f32_dpp v150, v249, v150 quad_perm:[2,2,2,2] row_mask:0xf bank_mask:0xf// 00000000DAF4: 0B2D2CFA FF00AAF9
	v_mul_f32_dpp v151, v249, v151 quad_perm:[3,3,3,3] row_mask:0xf bank_mask:0xf// 00000000DAFC: 0B2F2EFA FF00FFF9
	v_mul_f32_dpp v152, v250, v152 quad_perm:[0,0,0,0] row_mask:0xf bank_mask:0xf// 00000000DB04: 0B3130FA FF0000FA
	v_mul_f32_dpp v153, v250, v153 quad_perm:[1,1,1,1] row_mask:0xf bank_mask:0xf// 00000000DB0C: 0B3332FA FF0055FA
	v_mul_f32_dpp v154, v250, v154 quad_perm:[2,2,2,2] row_mask:0xf bank_mask:0xf// 00000000DB14: 0B3534FA FF00AAFA
	v_mul_f32_dpp v155, v250, v155 quad_perm:[3,3,3,3] row_mask:0xf bank_mask:0xf// 00000000DB1C: 0B3736FA FF00FFFA
	v_mul_f32_dpp v156, v251, v156 quad_perm:[0,0,0,0] row_mask:0xf bank_mask:0xf// 00000000DB24: 0B3938FA FF0000FB
	v_mul_f32_dpp v157, v251, v157 quad_perm:[1,1,1,1] row_mask:0xf bank_mask:0xf// 00000000DB2C: 0B3B3AFA FF0055FB
	v_mul_f32_dpp v158, v251, v158 quad_perm:[2,2,2,2] row_mask:0xf bank_mask:0xf// 00000000DB34: 0B3D3CFA FF00AAFB
	v_mul_f32_dpp v159, v251, v159 quad_perm:[3,3,3,3] row_mask:0xf bank_mask:0xf// 00000000DB3C: 0B3F3EFA FF00FFFB
	v_mov_b32_e32 v62, v144                                    // 00000000DB44: 7E7C0390
	v_max3_f32 v62, v144, v145, v62                            // 00000000DB48: D1D3003E 04FB2390
	v_max3_f32 v62, v146, v147, v62                            // 00000000DB50: D1D3003E 04FB2792
	v_max3_f32 v62, v148, v149, v62                            // 00000000DB58: D1D3003E 04FB2B94
	v_max3_f32 v62, v150, v151, v62                            // 00000000DB60: D1D3003E 04FB2F96
	v_max3_f32 v62, v152, v153, v62                            // 00000000DB68: D1D3003E 04FB3398
	v_max3_f32 v62, v154, v155, v62                            // 00000000DB70: D1D3003E 04FB379A
	v_max3_f32 v62, v156, v157, v62                            // 00000000DB78: D1D3003E 04FB3B9C
	v_max3_f32 v62, v158, v159, v62                            // 00000000DB80: D1D3003E 04FB3F9E
	ds_write_b32 v11, v62 offset:16896                         // 00000000DB88: D81A4200 00003E0B
	v_mul_f32_e32 v232, v64, v232                              // 00000000DB90: 0BD1D140
	v_mul_f32_e32 v233, v64, v233                              // 00000000DB94: 0BD3D340
	v_mul_f32_e32 v234, v64, v234                              // 00000000DB98: 0BD5D540
	v_mul_f32_e32 v235, v64, v235                              // 00000000DB9C: 0BD7D740
	v_mul_f32_e32 v236, v64, v236                              // 00000000DBA0: 0BD9D940
	v_mul_f32_e32 v237, v64, v237                              // 00000000DBA4: 0BDBDB40
	v_mul_f32_e32 v238, v64, v238                              // 00000000DBA8: 0BDDDD40
	v_mul_f32_e32 v239, v64, v239                              // 00000000DBAC: 0BDFDF40
	s_waitcnt lgkmcnt(0)                                       // 00000000DBB0: BF8CC07F
	s_barrier                                                  // 00000000DBB4: BF8A0000
	ds_read_b32 v80, v10 offset:16896                          // 00000000DBB8: D86C4200 5000000A
	ds_read_b32 v81, v10 offset:16960                          // 00000000DBC0: D86C4240 5100000A
	ds_read_b32 v82, v10 offset:17024                          // 00000000DBC8: D86C4280 5200000A
	ds_read_b32 v83, v10 offset:17088                          // 00000000DBD0: D86C42C0 5300000A
	ds_read_b32 v84, v10 offset:17152                          // 00000000DBD8: D86C4300 5400000A
	ds_read_b32 v85, v10 offset:17216                          // 00000000DBE0: D86C4340 5500000A
	ds_read_b32 v86, v10 offset:17280                          // 00000000DBE8: D86C4380 5600000A
	ds_read_b32 v87, v10 offset:17344                          // 00000000DBF0: D86C43C0 5700000A
	ds_read_b32 v88, v10 offset:17408                          // 00000000DBF8: D86C4400 5800000A
	ds_read_b32 v89, v10 offset:17472                          // 00000000DC00: D86C4440 5900000A
	ds_read_b32 v90, v10 offset:17536                          // 00000000DC08: D86C4480 5A00000A
	ds_read_b32 v91, v10 offset:17600                          // 00000000DC10: D86C44C0 5B00000A
	ds_read_b32 v92, v10 offset:17664                          // 00000000DC18: D86C4500 5C00000A
	ds_read_b32 v93, v10 offset:17728                          // 00000000DC20: D86C4540 5D00000A
	ds_read_b32 v94, v10 offset:17792                          // 00000000DC28: D86C4580 5E00000A
	ds_read_b32 v95, v10 offset:17856                          // 00000000DC30: D86C45C0 5F00000A
	v_cvt_f32_i32_e32 v200, v200                               // 00000000DC38: 7F900BC8
	v_cvt_f32_i32_e32 v201, v201                               // 00000000DC3C: 7F920BC9
	v_cvt_f32_i32_e32 v202, v202                               // 00000000DC40: 7F940BCA
	v_cvt_f32_i32_e32 v203, v203                               // 00000000DC44: 7F960BCB
	v_cvt_f32_i32_e32 v204, v204                               // 00000000DC48: 7F980BCC
	v_cvt_f32_i32_e32 v205, v205                               // 00000000DC4C: 7F9A0BCD
	v_cvt_f32_i32_e32 v206, v206                               // 00000000DC50: 7F9C0BCE
	v_cvt_f32_i32_e32 v207, v207                               // 00000000DC54: 7F9E0BCF
	v_mul_f32_e32 v200, v59, v200                              // 00000000DC58: 0B91913B
	v_mul_f32_e32 v201, v59, v201                              // 00000000DC5C: 0B93933B
	v_mul_f32_e32 v202, v59, v202                              // 00000000DC60: 0B95953B
	v_mul_f32_e32 v203, v59, v203                              // 00000000DC64: 0B97973B
	v_mul_f32_e32 v204, v59, v204                              // 00000000DC68: 0B99993B
	v_mul_f32_e32 v205, v59, v205                              // 00000000DC6C: 0B9B9B3B
	v_mul_f32_e32 v206, v59, v206                              // 00000000DC70: 0B9D9D3B
	v_mul_f32_e32 v207, v59, v207                              // 00000000DC74: 0B9F9F3B
	s_waitcnt lgkmcnt(0)                                       // 00000000DC78: BF8CC07F
	v_max3_f32 v62, v80, v81, v62                              // 00000000DC7C: D1D3003E 04FAA350
	v_max3_f32 v62, v82, v83, v62                              // 00000000DC84: D1D3003E 04FAA752
	v_max3_f32 v62, v84, v85, v62                              // 00000000DC8C: D1D3003E 04FAAB54
	v_max3_f32 v62, v86, v87, v62                              // 00000000DC94: D1D3003E 04FAAF56
	v_max3_f32 v62, v88, v89, v62                              // 00000000DC9C: D1D3003E 04FAB358
	v_max3_f32 v62, v90, v91, v62                              // 00000000DCA4: D1D3003E 04FAB75A
	v_max3_f32 v62, v92, v93, v62                              // 00000000DCAC: D1D3003E 04FABB5C
	v_max3_f32 v62, v94, v95, v62                              // 00000000DCB4: D1D3003E 04FABF5E
	v_mov_b32_e32 v41, 0xff800000                              // 00000000DCBC: 7E5202FF FF800000
	v_cmp_eq_u32_e64 s[40:41], v41, v15                        // 00000000DCC4: D0CA0028 00021F29
	s_nop 1                                                    // 00000000DCCC: BF800001
	v_max_f32_e32 v18, v62, v15                                // 00000000DCD0: 16241F3E
	v_mul_f32_e32 v67, s64, v18                                // 00000000DCD4: 0A862440
	v_fma_f32 v144, v144, s64, -v67                            // 00000000DCD8: D1CB0090 850C8190
	v_fma_f32 v145, v145, s64, -v67                            // 00000000DCE0: D1CB0091 850C8191
	v_fma_f32 v146, v146, s64, -v67                            // 00000000DCE8: D1CB0092 850C8192
	v_fma_f32 v147, v147, s64, -v67                            // 00000000DCF0: D1CB0093 850C8193
	v_fma_f32 v148, v148, s64, -v67                            // 00000000DCF8: D1CB0094 850C8194
	v_fma_f32 v149, v149, s64, -v67                            // 00000000DD00: D1CB0095 850C8195
	v_fma_f32 v150, v150, s64, -v67                            // 00000000DD08: D1CB0096 850C8196
	v_fma_f32 v151, v151, s64, -v67                            // 00000000DD10: D1CB0097 850C8197
	v_fma_f32 v152, v152, s64, -v67                            // 00000000DD18: D1CB0098 850C8198
	v_fma_f32 v153, v153, s64, -v67                            // 00000000DD20: D1CB0099 850C8199
	v_fma_f32 v154, v154, s64, -v67                            // 00000000DD28: D1CB009A 850C819A
	v_fma_f32 v155, v155, s64, -v67                            // 00000000DD30: D1CB009B 850C819B
	v_fma_f32 v156, v156, s64, -v67                            // 00000000DD38: D1CB009C 850C819C
	v_fma_f32 v157, v157, s64, -v67                            // 00000000DD40: D1CB009D 850C819D
	v_fma_f32 v158, v158, s64, -v67                            // 00000000DD48: D1CB009E 850C819E
	v_fma_f32 v159, v159, s64, -v67                            // 00000000DD50: D1CB009F 850C819F
	v_exp_f32_e32 v144, v144                                   // 00000000DD58: 7F204190
	v_exp_f32_e32 v145, v145                                   // 00000000DD5C: 7F224191
	v_exp_f32_e32 v146, v146                                   // 00000000DD60: 7F244192
	v_exp_f32_e32 v147, v147                                   // 00000000DD64: 7F264193
	v_exp_f32_e32 v148, v148                                   // 00000000DD68: 7F284194
	v_exp_f32_e32 v149, v149                                   // 00000000DD6C: 7F2A4195
	v_exp_f32_e32 v150, v150                                   // 00000000DD70: 7F2C4196
	v_exp_f32_e32 v151, v151                                   // 00000000DD74: 7F2E4197
	v_exp_f32_e32 v152, v152                                   // 00000000DD78: 7F304198
	v_exp_f32_e32 v153, v153                                   // 00000000DD7C: 7F324199
	v_exp_f32_e32 v154, v154                                   // 00000000DD80: 7F34419A
	v_exp_f32_e32 v155, v155                                   // 00000000DD84: 7F36419B
	v_exp_f32_e32 v156, v156                                   // 00000000DD88: 7F38419C
	v_exp_f32_e32 v157, v157                                   // 00000000DD8C: 7F3A419D
	v_exp_f32_e32 v158, v158                                   // 00000000DD90: 7F3C419E
	v_exp_f32_e32 v159, v159                                   // 00000000DD94: 7F3E419F
	v_mul_f32_dpp v240, v252, v144 quad_perm:[0,0,0,0] row_mask:0xf bank_mask:0xf// 00000000DD98: 0BE120FA FF0000FC
	v_mul_f32_dpp v241, v252, v145 quad_perm:[1,1,1,1] row_mask:0xf bank_mask:0xf// 00000000DDA0: 0BE322FA FF0055FC
	v_mul_f32_dpp v242, v252, v146 quad_perm:[2,2,2,2] row_mask:0xf bank_mask:0xf// 00000000DDA8: 0BE524FA FF00AAFC
	v_mul_f32_dpp v243, v252, v147 quad_perm:[3,3,3,3] row_mask:0xf bank_mask:0xf// 00000000DDB0: 0BE726FA FF00FFFC
	v_mul_f32_dpp v244, v253, v148 quad_perm:[0,0,0,0] row_mask:0xf bank_mask:0xf// 00000000DDB8: 0BE928FA FF0000FD
	v_mul_f32_dpp v245, v253, v149 quad_perm:[1,1,1,1] row_mask:0xf bank_mask:0xf// 00000000DDC0: 0BEB2AFA FF0055FD
	v_mul_f32_dpp v246, v253, v150 quad_perm:[2,2,2,2] row_mask:0xf bank_mask:0xf// 00000000DDC8: 0BED2CFA FF00AAFD
	v_mul_f32_dpp v247, v253, v151 quad_perm:[3,3,3,3] row_mask:0xf bank_mask:0xf// 00000000DDD0: 0BEF2EFA FF00FFFD
	v_mul_f32_dpp v248, v254, v152 quad_perm:[0,0,0,0] row_mask:0xf bank_mask:0xf// 00000000DDD8: 0BF130FA FF0000FE
	v_mul_f32_dpp v249, v254, v153 quad_perm:[1,1,1,1] row_mask:0xf bank_mask:0xf// 00000000DDE0: 0BF332FA FF0055FE
	v_mul_f32_dpp v250, v254, v154 quad_perm:[2,2,2,2] row_mask:0xf bank_mask:0xf// 00000000DDE8: 0BF534FA FF00AAFE
	v_mul_f32_dpp v251, v254, v155 quad_perm:[3,3,3,3] row_mask:0xf bank_mask:0xf// 00000000DDF0: 0BF736FA FF00FFFE
	v_mul_f32_dpp v252, v255, v156 quad_perm:[0,0,0,0] row_mask:0xf bank_mask:0xf// 00000000DDF8: 0BF938FA FF0000FF
	v_mul_f32_dpp v253, v255, v157 quad_perm:[1,1,1,1] row_mask:0xf bank_mask:0xf// 00000000DE00: 0BFB3AFA FF0055FF
	v_mul_f32_dpp v254, v255, v158 quad_perm:[2,2,2,2] row_mask:0xf bank_mask:0xf// 00000000DE08: 0BFD3CFA FF00AAFF
	v_mul_f32_dpp v255, v255, v159 quad_perm:[3,3,3,3] row_mask:0xf bank_mask:0xf// 00000000DE10: 0BFF3EFA FF00FFFF
	v_mov_b32_e32 v62, 0x358637bd                              // 00000000DE18: 7E7C02FF 358637BD
	v_max3_f32 v62, |v240|, |v241|, v62                        // 00000000DE20: D1D3033E 04FBE3F0
	v_max3_f32 v62, |v242|, |v243|, v62                        // 00000000DE28: D1D3033E 04FBE7F2
	v_max3_f32 v62, |v244|, |v245|, v62                        // 00000000DE30: D1D3033E 04FBEBF4
	v_max3_f32 v62, |v246|, |v247|, v62                        // 00000000DE38: D1D3033E 04FBEFF6
	v_max3_f32 v62, |v248|, |v249|, v62                        // 00000000DE40: D1D3033E 04FBF3F8
	v_max3_f32 v62, |v250|, |v251|, v62                        // 00000000DE48: D1D3033E 04FBF7FA
	v_max3_f32 v62, |v252|, |v253|, v62                        // 00000000DE50: D1D3033E 04FBFBFC
	v_max3_f32 v62, |v254|, |v255|, v62                        // 00000000DE58: D1D3033E 04FBFFFE
	ds_write_b32 v11, v62 offset:20992                         // 00000000DE60: D81A5200 00003E0B
	v_sub_f32_e32 v64, v15, v18                                // 00000000DE68: 0480250F
	v_cndmask_b32_e64 v64, v64, 0, s[40:41]                    // 00000000DE6C: D1000040 00A10140
	v_mov_b32_e32 v15, v18                                     // 00000000DE74: 7E1E0312
	v_mul_f32_e32 v64, s64, v64                                // 00000000DE78: 0A808040
	v_exp_f32_e32 v64, v64                                     // 00000000DE7C: 7E804140
	s_waitcnt lgkmcnt(0)                                       // 00000000DE80: BF8CC07F
	s_barrier                                                  // 00000000DE84: BF8A0000
	ds_read_b32 v80, v10 offset:20992                          // 00000000DE88: D86C5200 5000000A
	ds_read_b32 v81, v10 offset:21056                          // 00000000DE90: D86C5240 5100000A
	ds_read_b32 v82, v10 offset:21120                          // 00000000DE98: D86C5280 5200000A
	ds_read_b32 v83, v10 offset:21184                          // 00000000DEA0: D86C52C0 5300000A
	ds_read_b32 v84, v10 offset:21248                          // 00000000DEA8: D86C5300 5400000A
	ds_read_b32 v85, v10 offset:21312                          // 00000000DEB0: D86C5340 5500000A
	ds_read_b32 v86, v10 offset:21376                          // 00000000DEB8: D86C5380 5600000A
	ds_read_b32 v87, v10 offset:21440                          // 00000000DEC0: D86C53C0 5700000A
	ds_read_b32 v88, v10 offset:21504                          // 00000000DEC8: D86C5400 5800000A
	ds_read_b32 v89, v10 offset:21568                          // 00000000DED0: D86C5440 5900000A
	ds_read_b32 v90, v10 offset:21632                          // 00000000DED8: D86C5480 5A00000A
	ds_read_b32 v91, v10 offset:21696                          // 00000000DEE0: D86C54C0 5B00000A
	ds_read_b32 v92, v10 offset:21760                          // 00000000DEE8: D86C5500 5C00000A
	ds_read_b32 v93, v10 offset:21824                          // 00000000DEF0: D86C5540 5D00000A
	ds_read_b32 v94, v10 offset:21888                          // 00000000DEF8: D86C5580 5E00000A
	ds_read_b32 v95, v10 offset:21952                          // 00000000DF00: D86C55C0 5F00000A
	v_mul_f32_e32 v48, v64, v48                                // 00000000DF08: 0A606140
	v_mov_b32_e32 v18, v144                                    // 00000000DF0C: 7E240390
	v_add_f32_e32 v18, v145, v18                               // 00000000DF10: 02242591
	v_add_f32_e32 v18, v146, v18                               // 00000000DF14: 02242592
	v_add_f32_e32 v18, v147, v18                               // 00000000DF18: 02242593
	v_add_f32_e32 v18, v148, v18                               // 00000000DF1C: 02242594
	v_add_f32_e32 v18, v149, v18                               // 00000000DF20: 02242595
	v_add_f32_e32 v18, v150, v18                               // 00000000DF24: 02242596
	v_add_f32_e32 v18, v151, v18                               // 00000000DF28: 02242597
	v_add_f32_e32 v18, v152, v18                               // 00000000DF2C: 02242598
	v_add_f32_e32 v18, v153, v18                               // 00000000DF30: 02242599
	v_add_f32_e32 v18, v154, v18                               // 00000000DF34: 0224259A
	v_add_f32_e32 v18, v155, v18                               // 00000000DF38: 0224259B
	v_add_f32_e32 v18, v156, v18                               // 00000000DF3C: 0224259C
	v_add_f32_e32 v18, v157, v18                               // 00000000DF40: 0224259D
	v_add_f32_e32 v18, v158, v18                               // 00000000DF44: 0224259E
	v_add_f32_e32 v18, v159, v18                               // 00000000DF48: 0224259F
	v_add_f32_e32 v48, v18, v48                                // 00000000DF4C: 02606112
	s_waitcnt lgkmcnt(0)                                       // 00000000DF50: BF8CC07F
	v_max3_f32 v62, |v80|, |v81|, v62                          // 00000000DF54: D1D3033E 04FAA350
	v_max3_f32 v62, |v82|, |v83|, v62                          // 00000000DF5C: D1D3033E 04FAA752
	v_max3_f32 v62, |v84|, |v85|, v62                          // 00000000DF64: D1D3033E 04FAAB54
	v_max3_f32 v62, |v86|, |v87|, v62                          // 00000000DF6C: D1D3033E 04FAAF56
	v_max3_f32 v62, |v88|, |v89|, v62                          // 00000000DF74: D1D3033E 04FAB358
	v_max3_f32 v62, |v90|, |v91|, v62                          // 00000000DF7C: D1D3033E 04FAB75A
	v_max3_f32 v62, |v92|, |v93|, v62                          // 00000000DF84: D1D3033E 04FABB5C
	v_max3_f32 v62, |v94|, |v95|, v62                          // 00000000DF8C: D1D3033E 04FABF5E
	s_nop 2                                                    // 00000000DF94: BF800002
	v_rcp_f32_e32 v62, v62                                     // 00000000DF98: 7E7C453E
	s_nop 1                                                    // 00000000DF9C: BF800001
	v_mul_f32_e32 v62, 0x42fe0000, v62                         // 00000000DFA0: 0A7C7CFF 42FE0000
	v_mul_f32_e32 v144, v62, v240                              // 00000000DFA8: 0B21E13E
	v_mul_f32_e32 v145, v62, v241                              // 00000000DFAC: 0B23E33E
	v_mul_f32_e32 v146, v62, v242                              // 00000000DFB0: 0B25E53E
	v_mul_f32_e32 v147, v62, v243                              // 00000000DFB4: 0B27E73E
	v_mul_f32_e32 v148, v62, v244                              // 00000000DFB8: 0B29E93E
	v_mul_f32_e32 v149, v62, v245                              // 00000000DFBC: 0B2BEB3E
	v_mul_f32_e32 v150, v62, v246                              // 00000000DFC0: 0B2DED3E
	v_mul_f32_e32 v151, v62, v247                              // 00000000DFC4: 0B2FEF3E
	v_mul_f32_e32 v152, v62, v248                              // 00000000DFC8: 0B31F13E
	v_mul_f32_e32 v153, v62, v249                              // 00000000DFCC: 0B33F33E
	v_mul_f32_e32 v154, v62, v250                              // 00000000DFD0: 0B35F53E
	v_mul_f32_e32 v155, v62, v251                              // 00000000DFD4: 0B37F73E
	v_mul_f32_e32 v156, v62, v252                              // 00000000DFD8: 0B39F93E
	v_mul_f32_e32 v157, v62, v253                              // 00000000DFDC: 0B3BFB3E
	v_mul_f32_e32 v158, v62, v254                              // 00000000DFE0: 0B3DFD3E
	v_mul_f32_e32 v159, v62, v255                              // 00000000DFE4: 0B3FFF3E
	v_cvt_i32_f32_e32 v144, v144                               // 00000000DFE8: 7F201190
	v_cvt_i32_f32_e32 v145, v145                               // 00000000DFEC: 7F221191
	v_cvt_i32_f32_e32 v146, v146                               // 00000000DFF0: 7F241192
	v_cvt_i32_f32_e32 v147, v147                               // 00000000DFF4: 7F261193
	v_cvt_i32_f32_e32 v148, v148                               // 00000000DFF8: 7F281194
	v_cvt_i32_f32_e32 v149, v149                               // 00000000DFFC: 7F2A1195
	v_cvt_i32_f32_e32 v150, v150                               // 00000000E000: 7F2C1196
	v_cvt_i32_f32_e32 v151, v151                               // 00000000E004: 7F2E1197
	v_cvt_i32_f32_e32 v152, v152                               // 00000000E008: 7F301198
	v_cvt_i32_f32_e32 v153, v153                               // 00000000E00C: 7F321199
	v_cvt_i32_f32_e32 v154, v154                               // 00000000E010: 7F34119A
	v_cvt_i32_f32_e32 v155, v155                               // 00000000E014: 7F36119B
	v_cvt_i32_f32_e32 v156, v156                               // 00000000E018: 7F38119C
	v_cvt_i32_f32_e32 v157, v157                               // 00000000E01C: 7F3A119D
	v_cvt_i32_f32_e32 v158, v158                               // 00000000E020: 7F3C119E
	v_cvt_i32_f32_e32 v159, v159                               // 00000000E024: 7F3E119F
	v_perm_b32 v144, v145, v144, s53                           // 00000000E028: D1ED0090 00D72191
	v_perm_b32 v144, v146, v144, s54                           // 00000000E030: D1ED0090 00DB2192
	v_perm_b32 v144, v147, v144, s55                           // 00000000E038: D1ED0090 00DF2193
	v_perm_b32 v145, v149, v148, s53                           // 00000000E040: D1ED0091 00D72995
	v_perm_b32 v145, v150, v145, s54                           // 00000000E048: D1ED0091 00DB2396
	v_perm_b32 v145, v151, v145, s55                           // 00000000E050: D1ED0091 00DF2397
	v_perm_b32 v146, v153, v152, s53                           // 00000000E058: D1ED0092 00D73199
	v_perm_b32 v146, v154, v146, s54                           // 00000000E060: D1ED0092 00DB259A
	v_perm_b32 v146, v155, v146, s55                           // 00000000E068: D1ED0092 00DF259B
	v_perm_b32 v147, v157, v156, s53                           // 00000000E070: D1ED0093 00D7399D
	v_perm_b32 v147, v158, v147, s54                           // 00000000E078: D1ED0093 00DB279E
	v_perm_b32 v147, v159, v147, s55                           // 00000000E080: D1ED0093 00DF279F
	ds_write_b32 v13, v144 offset:29184                        // 00000000E088: D81A7200 0000900D
	ds_write_b32 v13, v145 offset:30208                        // 00000000E090: D81A7600 0000910D
	ds_write_b32 v13, v146 offset:31232                        // 00000000E098: D81A7A00 0000920D
	ds_write_b32 v13, v147 offset:32256                        // 00000000E0A0: D81A7E00 0000930D
	v_add_f32_e32 v232, v232, v200                             // 00000000E0A8: 03D191E8
	v_add_f32_e32 v233, v233, v201                             // 00000000E0AC: 03D393E9
	v_add_f32_e32 v234, v234, v202                             // 00000000E0B0: 03D595EA
	v_add_f32_e32 v235, v235, v203                             // 00000000E0B4: 03D797EB
	v_add_f32_e32 v236, v236, v204                             // 00000000E0B8: 03D999EC
	v_add_f32_e32 v237, v237, v205                             // 00000000E0BC: 03DB9BED
	v_add_f32_e32 v238, v238, v206                             // 00000000E0C0: 03DD9DEE
	v_add_f32_e32 v239, v239, v207                             // 00000000E0C4: 03DF9FEF
	v_rcp_f32_e32 v59, v62                                     // 00000000E0C8: 7E76453E
	s_waitcnt lgkmcnt(0)                                       // 00000000E0CC: BF8CC07F
	s_barrier                                                  // 00000000E0D0: BF8A0000
	ds_read_b64 v[144:145], v12 offset:29184                   // 00000000E0D4: D8EC7200 9000000C
	ds_read_b64 v[146:147], v12 offset:29312                   // 00000000E0DC: D8EC7280 9200000C
	ds_read_b64 v[148:149], v12 offset:30208                   // 00000000E0E4: D8EC7600 9400000C
	ds_read_b64 v[150:151], v12 offset:30336                   // 00000000E0EC: D8EC7680 9600000C
	ds_read_b64 v[152:153], v12 offset:31232                   // 00000000E0F4: D8EC7A00 9800000C
	ds_read_b64 v[154:155], v12 offset:31360                   // 00000000E0FC: D8EC7A80 9A00000C
	ds_read_b64 v[156:157], v12 offset:32256                   // 00000000E104: D8EC7E00 9C00000C
	ds_read_b64 v[158:159], v12 offset:32384                   // 00000000E10C: D8EC7E80 9E00000C
	s_waitcnt vmcnt(15)                                        // 00000000E114: BF8C0F7F
	v_mfma_i32_16x16x32_i8 v[192:195], a[64:65], v[128:129], 0 // 00000000E118: D3D700C0 0A030140
	buffer_load_dwordx4 a[112:115], v37, s[20:23], 0 offen offset:1024// 00000000E120: E05C1400 80857025
	v_mfma_i32_16x16x32_i8 v[192:195], a[66:67], v[130:131], v[192:195]// 00000000E128: D3D700C0 0F030542
	v_mfma_i32_16x16x32_i8 v[192:195], a[68:69], v[132:133], v[192:195]// 00000000E130: D3D700C0 0F030944
	v_mfma_i32_16x16x32_i8 v[192:195], a[70:71], v[134:135], v[192:195]// 00000000E138: D3D700C0 0F030D46
	v_mfma_i32_16x16x32_i8 v[192:195], a[72:73], v[136:137], v[192:195]// 00000000E140: D3D700C0 0F031148
	buffer_load_dwordx4 a[116:119], v38, s[20:23], 0 offen offset:1024// 00000000E148: E05C1400 80857426
	v_mfma_i32_16x16x32_i8 v[192:195], a[74:75], v[138:139], v[192:195]// 00000000E150: D3D700C0 0F03154A
	v_mfma_i32_16x16x32_i8 v[192:195], a[76:77], v[140:141], v[192:195]// 00000000E158: D3D700C0 0F03194C
	v_mfma_i32_16x16x32_i8 v[192:195], a[78:79], v[142:143], v[192:195]// 00000000E160: D3D700C0 0F031D4E
	v_mfma_i32_16x16x32_i8 v[196:199], a[80:81], v[128:129], 0 // 00000000E168: D3D700C4 0A030150
	buffer_load_dwordx4 a[120:123], v39, s[20:23], 0 offen offset:1024// 00000000E170: E05C1400 80857827
	v_mfma_i32_16x16x32_i8 v[196:199], a[82:83], v[130:131], v[196:199]// 00000000E178: D3D700C4 0F130552
	v_mfma_i32_16x16x32_i8 v[196:199], a[84:85], v[132:133], v[196:199]// 00000000E180: D3D700C4 0F130954
	v_mfma_i32_16x16x32_i8 v[196:199], a[86:87], v[134:135], v[196:199]// 00000000E188: D3D700C4 0F130D56
	v_mfma_i32_16x16x32_i8 v[196:199], a[88:89], v[136:137], v[196:199]// 00000000E190: D3D700C4 0F131158
	buffer_load_dwordx4 a[124:127], v40, s[20:23], 0 offen offset:1024// 00000000E198: E05C1400 80857C28
	v_mfma_i32_16x16x32_i8 v[196:199], a[90:91], v[138:139], v[196:199]// 00000000E1A0: D3D700C4 0F13155A
	v_mfma_i32_16x16x32_i8 v[196:199], a[92:93], v[140:141], v[196:199]// 00000000E1A8: D3D700C4 0F13195C
	s_lshr_b32 s57, s70, 4                                     // 00000000E1B0: 8F398446
	s_add_u32 s57, 48, s57                                     // 00000000E1B4: 803939B0
	v_mfma_i32_16x16x32_i8 v[196:199], a[94:95], v[142:143], v[196:199]// 00000000E1B8: D3D700C4 0F131D5E
	s_cmp_ge_u32 s57, s73                                      // 00000000E1C0: BF094939
	s_cselect_b32 s56, 0, s56                                  // 00000000E1C4: 85383880
	v_mfma_i32_16x16x32_i8 v[200:203], a[64:65], v[144:145], 0 // 00000000E1C8: D3D700C8 0A032140
	v_mfma_i32_16x16x32_i8 v[200:203], a[66:67], v[146:147], v[200:203]// 00000000E1D0: D3D700C8 0F232542
	v_mfma_i32_16x16x32_i8 v[200:203], a[68:69], v[148:149], v[200:203]// 00000000E1D8: D3D700C8 0F232944
	v_mfma_i32_16x16x32_i8 v[200:203], a[70:71], v[150:151], v[200:203]// 00000000E1E0: D3D700C8 0F232D46
	v_mfma_i32_16x16x32_i8 v[200:203], a[72:73], v[152:153], v[200:203]// 00000000E1E8: D3D700C8 0F233148
	v_mfma_i32_16x16x32_i8 v[200:203], a[74:75], v[154:155], v[200:203]// 00000000E1F0: D3D700C8 0F23354A
	v_mfma_i32_16x16x32_i8 v[200:203], a[76:77], v[156:157], v[200:203]// 00000000E1F8: D3D700C8 0F23394C
	v_mfma_i32_16x16x32_i8 v[200:203], a[78:79], v[158:159], v[200:203]// 00000000E200: D3D700C8 0F233D4E
	v_mfma_i32_16x16x32_i8 v[204:207], a[80:81], v[144:145], 0 // 00000000E208: D3D700CC 0A032150
	v_mfma_i32_16x16x32_i8 v[204:207], a[82:83], v[146:147], v[204:207]// 00000000E210: D3D700CC 0F332552
	v_mfma_i32_16x16x32_i8 v[204:207], a[84:85], v[148:149], v[204:207]// 00000000E218: D3D700CC 0F332954
	v_mfma_i32_16x16x32_i8 v[204:207], a[86:87], v[150:151], v[204:207]// 00000000E220: D3D700CC 0F332D56
	v_mfma_i32_16x16x32_i8 v[204:207], a[88:89], v[152:153], v[204:207]// 00000000E228: D3D700CC 0F333158
	v_mfma_i32_16x16x32_i8 v[204:207], a[90:91], v[154:155], v[204:207]// 00000000E230: D3D700CC 0F33355A
	v_mfma_i32_16x16x32_i8 v[204:207], a[92:93], v[156:157], v[204:207]// 00000000E238: D3D700CC 0F33395C
	v_mfma_i32_16x16x32_i8 v[204:207], a[94:95], v[158:159], v[204:207]// 00000000E240: D3D700CC 0F333D5E
	v_add_u32_e32 v1, s56, v1                                  // 00000000E248: 68020238
	s_addk_i32 s70, 0x100                                      // 00000000E24C: B7460100
	s_cmp_lt_i32 s70, s71                                      // 00000000E250: BF044746
	s_cbranch_scc0 label_2B75                                  // 00000000E254: BF84FB5F
	s_waitcnt vmcnt(8) lgkmcnt(0)                              // 00000000E258: BF8C0078
	v_mul_u32_u24_dpp v41, v19, v68 row_newbcast:0 row_mask:0xf bank_mask:0xf// 00000000E25C: 105288FA FF015013
	v_mul_u32_u24_dpp v42, v19, v68 row_newbcast:4 row_mask:0xf bank_mask:0xf// 00000000E264: 105488FA FF015413
	v_mul_u32_u24_dpp v43, v19, v68 row_newbcast:8 row_mask:0xf bank_mask:0xf// 00000000E26C: 105688FA FF015813
	v_mul_u32_u24_dpp v44, v19, v68 row_newbcast:12 row_mask:0xf bank_mask:0xf// 00000000E274: 105888FA FF015C13
	v_add_u32_e32 v25, v41, v6                                 // 00000000E27C: 68320D29
	v_add_u32_e32 v26, v42, v6                                 // 00000000E280: 68340D2A
	v_add_u32_e32 v27, v43, v6                                 // 00000000E284: 68360D2B
	v_add_u32_e32 v28, v44, v6                                 // 00000000E288: 68380D2C
	v_mul_u32_u24_dpp v41, v19, v78 quad_perm:[0,0,0,0] row_mask:0xf bank_mask:0xf// 00000000E28C: 10529CFA FF000013
	v_add_u32_e32 v2, v41, v74                                 // 00000000E294: 68049529
	v_mul_u32_u24_dpp v41, v19, v78 quad_perm:[0,0,0,0] row_mask:0xf bank_mask:0xf// 00000000E298: 10529CFA FF000013
	v_add_u32_e32 v70, v41, v75                                // 00000000E2A0: 688C9729
	v_mfma_i32_16x16x32_i8 v[128:131], a[32:33], v[96:97], 0   // 00000000E2A4: D3D70080 0A02C120
	buffer_load_dwordx4 a[0:3], v25, s[16:19], 0 offen         // 00000000E2AC: E05C1000 80840019
	v_mfma_i32_16x16x32_i8 v[128:131], a[34:35], v[98:99], v[128:131]// 00000000E2B4: D3D70080 0E02C522
	v_mfma_i32_16x16x32_i8 v[128:131], a[36:37], v[100:101], v[128:131]// 00000000E2BC: D3D70080 0E02C924
	buffer_load_dword v20, v1, s[24:27], 0 offen               // 00000000E2C4: E0501000 80061401
	v_mfma_i32_16x16x32_i8 v[128:131], a[38:39], v[102:103], v[128:131]// 00000000E2CC: D3D70080 0E02CD26
	v_mfma_i32_16x16x32_i8 v[132:135], a[40:41], v[96:97], 0   // 00000000E2D4: D3D70084 0A02C128
	buffer_load_dwordx4 a[4:7], v25, s[16:19], 0 offen offset:1024// 00000000E2DC: E05C1400 80840419
	v_mfma_i32_16x16x32_i8 v[132:135], a[42:43], v[98:99], v[132:135]// 00000000E2E4: D3D70084 0E12C52A
	v_mfma_i32_16x16x32_i8 v[132:135], a[44:45], v[100:101], v[132:135]// 00000000E2EC: D3D70084 0E12C92C
	v_mfma_i32_16x16x32_i8 v[132:135], a[46:47], v[102:103], v[132:135]// 00000000E2F4: D3D70084 0E12CD2E
	v_mfma_i32_16x16x32_i8 v[136:139], a[48:49], v[96:97], 0   // 00000000E2FC: D3D70088 0A02C130
	buffer_load_dwordx4 a[8:11], v26, s[16:19], 0 offen        // 00000000E304: E05C1000 8084081A
	v_mfma_i32_16x16x32_i8 v[136:139], a[50:51], v[98:99], v[136:139]// 00000000E30C: D3D70088 0E22C532
	v_mfma_i32_16x16x32_i8 v[136:139], a[52:53], v[100:101], v[136:139]// 00000000E314: D3D70088 0E22C934
	v_mfma_i32_16x16x32_i8 v[136:139], a[54:55], v[102:103], v[136:139]// 00000000E31C: D3D70088 0E22CD36
	v_mfma_i32_16x16x32_i8 v[140:143], a[56:57], v[96:97], 0   // 00000000E324: D3D7008C 0A02C138
	buffer_load_dwordx4 a[12:15], v26, s[16:19], 0 offen offset:1024// 00000000E32C: E05C1400 80840C1A
	v_mfma_i32_16x16x32_i8 v[140:143], a[58:59], v[98:99], v[140:143]// 00000000E334: D3D7008C 0E32C53A
	v_mfma_i32_16x16x32_i8 v[140:143], a[60:61], v[100:101], v[140:143]// 00000000E33C: D3D7008C 0E32C93C
	v_mfma_i32_16x16x32_i8 v[140:143], a[62:63], v[102:103], v[140:143]// 00000000E344: D3D7008C 0E32CD3E
	v_mfma_i32_16x16x32_i8 v[144:147], a[32:33], v[104:105], 0 // 00000000E34C: D3D70090 0A02D120
	v_mfma_i32_16x16x32_i8 v[144:147], a[34:35], v[106:107], v[144:147]// 00000000E354: D3D70090 0E42D522
	v_mfma_i32_16x16x32_i8 v[144:147], a[36:37], v[108:109], v[144:147]// 00000000E35C: D3D70090 0E42D924
	v_mfma_i32_16x16x32_i8 v[144:147], a[38:39], v[110:111], v[144:147]// 00000000E364: D3D70090 0E42DD26
	v_mfma_i32_16x16x32_i8 v[148:151], a[40:41], v[104:105], 0 // 00000000E36C: D3D70094 0A02D128
	v_mfma_i32_16x16x32_i8 v[148:151], a[42:43], v[106:107], v[148:151]// 00000000E374: D3D70094 0E52D52A
	v_mfma_i32_16x16x32_i8 v[148:151], a[44:45], v[108:109], v[148:151]// 00000000E37C: D3D70094 0E52D92C
	v_mfma_i32_16x16x32_i8 v[148:151], a[46:47], v[110:111], v[148:151]// 00000000E384: D3D70094 0E52DD2E
	v_mfma_i32_16x16x32_i8 v[152:155], a[48:49], v[104:105], 0 // 00000000E38C: D3D70098 0A02D130
	v_mfma_i32_16x16x32_i8 v[152:155], a[50:51], v[106:107], v[152:155]// 00000000E394: D3D70098 0E62D532
	v_mfma_i32_16x16x32_i8 v[152:155], a[52:53], v[108:109], v[152:155]// 00000000E39C: D3D70098 0E62D934
	v_mfma_i32_16x16x32_i8 v[152:155], a[54:55], v[110:111], v[152:155]// 00000000E3A4: D3D70098 0E62DD36
	v_mfma_i32_16x16x32_i8 v[156:159], a[56:57], v[104:105], 0 // 00000000E3AC: D3D7009C 0A02D138
	v_mfma_i32_16x16x32_i8 v[156:159], a[58:59], v[106:107], v[156:159]// 00000000E3B4: D3D7009C 0E72D53A
	v_mfma_i32_16x16x32_i8 v[156:159], a[60:61], v[108:109], v[156:159]// 00000000E3BC: D3D7009C 0E72D93C
	v_mfma_i32_16x16x32_i8 v[156:159], a[62:63], v[110:111], v[156:159]// 00000000E3C4: D3D7009C 0E72DD3E
	buffer_load_dword v52, v2, s[32:35], 0 offen               // 00000000E3CC: E0501000 80083402
	v_mov_b32_dpp v41, v53 row_shr:4 row_mask:0xf bank_mask:0xf// 00000000E3D4: 7E5202FA FF011435
	v_mov_b32_dpp v42, v53 row_shl:4 row_mask:0xf bank_mask:0xf// 00000000E3DC: 7E5402FA FF010435
	v_cndmask_b32_e64 v248, v53, v41, s[44:45]                 // 00000000E3E4: D10000F8 00B25335
	v_cndmask_b32_e64 v249, v42, v53, s[44:45]                 // 00000000E3EC: D10000F9 00B26B2A
	v_mov_b32_dpp v41, v248 row_shr:8 row_mask:0xf bank_mask:0xf// 00000000E3F4: 7E5202FA FF0118F8
	v_mov_b32_dpp v42, v248 row_shl:8 row_mask:0xf bank_mask:0xf// 00000000E3FC: 7E5402FA FF0108F8
	v_mov_b32_dpp v43, v249 row_shr:8 row_mask:0xf bank_mask:0xf// 00000000E404: 7E5602FA FF0118F9
	v_mov_b32_dpp v44, v249 row_shl:8 row_mask:0xf bank_mask:0xf// 00000000E40C: 7E5802FA FF0108F9
	v_mov_b32_e32 v45, v248                                    // 00000000E414: 7E5A03F8
	v_mov_b32_e32 v46, v249                                    // 00000000E418: 7E5C03F9
	v_cndmask_b32_e64 v248, v45, v41, s[42:43]                 // 00000000E41C: D10000F8 00AA532D
	v_cndmask_b32_e64 v250, v45, v42, s[78:79]                 // 00000000E424: D10000FA 013A552D
	v_cndmask_b32_e64 v249, v46, v43, s[42:43]                 // 00000000E42C: D10000F9 00AA572E
	v_cndmask_b32_e64 v251, v46, v44, s[78:79]                 // 00000000E434: D10000FB 013A592E
	v_mov_b32_dpp v41, v73 row_shr:4 row_mask:0xf bank_mask:0xf// 00000000E43C: 7E5202FA FF011449
	v_mov_b32_dpp v42, v73 row_shl:4 row_mask:0xf bank_mask:0xf// 00000000E444: 7E5402FA FF010449
	v_cndmask_b32_e64 v252, v73, v41, s[44:45]                 // 00000000E44C: D10000FC 00B25349
	v_cndmask_b32_e64 v253, v42, v73, s[44:45]                 // 00000000E454: D10000FD 00B2932A
	v_mov_b32_dpp v41, v252 row_shr:8 row_mask:0xf bank_mask:0xf// 00000000E45C: 7E5202FA FF0118FC
	v_mov_b32_dpp v42, v252 row_shl:8 row_mask:0xf bank_mask:0xf// 00000000E464: 7E5402FA FF0108FC
	v_mov_b32_dpp v43, v253 row_shr:8 row_mask:0xf bank_mask:0xf// 00000000E46C: 7E5602FA FF0118FD
	v_mov_b32_dpp v44, v253 row_shl:8 row_mask:0xf bank_mask:0xf// 00000000E474: 7E5802FA FF0108FD
	v_mov_b32_e32 v45, v252                                    // 00000000E47C: 7E5A03FC
	v_mov_b32_e32 v46, v253                                    // 00000000E480: 7E5C03FD
	v_cndmask_b32_e64 v252, v45, v41, s[42:43]                 // 00000000E484: D10000FC 00AA532D
	v_cndmask_b32_e64 v254, v45, v42, s[78:79]                 // 00000000E48C: D10000FE 013A552D
	v_cndmask_b32_e64 v253, v46, v43, s[42:43]                 // 00000000E494: D10000FD 00AA572E
	v_cndmask_b32_e64 v255, v46, v44, s[78:79]                 // 00000000E49C: D10000FF 013A592E
	buffer_load_dword v72, v70, s[36:39], 0 offen              // 00000000E4A4: E0501000 80094846
	v_cvt_f32_i32_e32 v128, v128                               // 00000000E4AC: 7F000B80
	v_cvt_f32_i32_e32 v129, v129                               // 00000000E4B0: 7F020B81
	v_cvt_f32_i32_e32 v130, v130                               // 00000000E4B4: 7F040B82
	v_cvt_f32_i32_e32 v131, v131                               // 00000000E4B8: 7F060B83
	v_cvt_f32_i32_e32 v132, v132                               // 00000000E4BC: 7F080B84
	v_cvt_f32_i32_e32 v133, v133                               // 00000000E4C0: 7F0A0B85
	v_cvt_f32_i32_e32 v134, v134                               // 00000000E4C4: 7F0C0B86
	v_cvt_f32_i32_e32 v135, v135                               // 00000000E4C8: 7F0E0B87
	v_cvt_f32_i32_e32 v136, v136                               // 00000000E4CC: 7F100B88
	v_cvt_f32_i32_e32 v137, v137                               // 00000000E4D0: 7F120B89
	v_cvt_f32_i32_e32 v138, v138                               // 00000000E4D4: 7F140B8A
	v_cvt_f32_i32_e32 v139, v139                               // 00000000E4D8: 7F160B8B
	v_cvt_f32_i32_e32 v140, v140                               // 00000000E4DC: 7F180B8C
	v_cvt_f32_i32_e32 v141, v141                               // 00000000E4E0: 7F1A0B8D
	v_cvt_f32_i32_e32 v142, v142                               // 00000000E4E4: 7F1C0B8E
	v_cvt_f32_i32_e32 v143, v143                               // 00000000E4E8: 7F1E0B8F
	v_mul_f32_e32 v128, v54, v128                              // 00000000E4EC: 0B010136
	v_mul_f32_e32 v129, v54, v129                              // 00000000E4F0: 0B030336
	v_mul_f32_e32 v130, v54, v130                              // 00000000E4F4: 0B050536
	v_mul_f32_e32 v131, v54, v131                              // 00000000E4F8: 0B070736
	v_mul_f32_e32 v132, v54, v132                              // 00000000E4FC: 0B090936
	v_mul_f32_e32 v133, v54, v133                              // 00000000E500: 0B0B0B36
	v_mul_f32_e32 v134, v54, v134                              // 00000000E504: 0B0D0D36
	v_mul_f32_e32 v135, v54, v135                              // 00000000E508: 0B0F0F36
	v_mul_f32_e32 v136, v54, v136                              // 00000000E50C: 0B111136
	v_mul_f32_e32 v137, v54, v137                              // 00000000E510: 0B131336
	v_mul_f32_e32 v138, v54, v138                              // 00000000E514: 0B151536
	v_mul_f32_e32 v139, v54, v139                              // 00000000E518: 0B171736
	v_mul_f32_e32 v140, v54, v140                              // 00000000E51C: 0B191936
	v_mul_f32_e32 v141, v54, v141                              // 00000000E520: 0B1B1B36
	v_mul_f32_e32 v142, v54, v142                              // 00000000E524: 0B1D1D36
	v_mul_f32_e32 v143, v54, v143                              // 00000000E528: 0B1F1F36
	buffer_load_dwordx4 a[16:19], v27, s[16:19], 0 offen       // 00000000E52C: E05C1000 8084101B
	v_mul_f32_dpp v128, v248, v128 quad_perm:[0,0,0,0] row_mask:0xf bank_mask:0xf// 00000000E534: 0B0100FA FF0000F8
	v_mul_f32_dpp v129, v248, v129 quad_perm:[1,1,1,1] row_mask:0xf bank_mask:0xf// 00000000E53C: 0B0302FA FF0055F8
	v_mul_f32_dpp v130, v248, v130 quad_perm:[2,2,2,2] row_mask:0xf bank_mask:0xf// 00000000E544: 0B0504FA FF00AAF8
	v_mul_f32_dpp v131, v248, v131 quad_perm:[3,3,3,3] row_mask:0xf bank_mask:0xf// 00000000E54C: 0B0706FA FF00FFF8
	v_mul_f32_dpp v132, v249, v132 quad_perm:[0,0,0,0] row_mask:0xf bank_mask:0xf// 00000000E554: 0B0908FA FF0000F9
	v_mul_f32_dpp v133, v249, v133 quad_perm:[1,1,1,1] row_mask:0xf bank_mask:0xf// 00000000E55C: 0B0B0AFA FF0055F9
	v_mul_f32_dpp v134, v249, v134 quad_perm:[2,2,2,2] row_mask:0xf bank_mask:0xf// 00000000E564: 0B0D0CFA FF00AAF9
	v_mul_f32_dpp v135, v249, v135 quad_perm:[3,3,3,3] row_mask:0xf bank_mask:0xf// 00000000E56C: 0B0F0EFA FF00FFF9
	v_mul_f32_dpp v136, v250, v136 quad_perm:[0,0,0,0] row_mask:0xf bank_mask:0xf// 00000000E574: 0B1110FA FF0000FA
	v_mul_f32_dpp v137, v250, v137 quad_perm:[1,1,1,1] row_mask:0xf bank_mask:0xf// 00000000E57C: 0B1312FA FF0055FA
	v_mul_f32_dpp v138, v250, v138 quad_perm:[2,2,2,2] row_mask:0xf bank_mask:0xf// 00000000E584: 0B1514FA FF00AAFA
	v_mul_f32_dpp v139, v250, v139 quad_perm:[3,3,3,3] row_mask:0xf bank_mask:0xf// 00000000E58C: 0B1716FA FF00FFFA
	v_mul_f32_dpp v140, v251, v140 quad_perm:[0,0,0,0] row_mask:0xf bank_mask:0xf// 00000000E594: 0B1918FA FF0000FB
	v_mul_f32_dpp v141, v251, v141 quad_perm:[1,1,1,1] row_mask:0xf bank_mask:0xf// 00000000E59C: 0B1B1AFA FF0055FB
	v_mul_f32_dpp v142, v251, v142 quad_perm:[2,2,2,2] row_mask:0xf bank_mask:0xf// 00000000E5A4: 0B1D1CFA FF00AAFB
	v_mul_f32_dpp v143, v251, v143 quad_perm:[3,3,3,3] row_mask:0xf bank_mask:0xf// 00000000E5AC: 0B1F1EFA FF00FFFB
	buffer_load_dwordx4 a[20:23], v27, s[16:19], 0 offen offset:1024// 00000000E5B4: E05C1400 8084141B
	v_mov_b32_e32 v62, v128                                    // 00000000E5BC: 7E7C0380
	v_max3_f32 v62, v128, v129, v62                            // 00000000E5C0: D1D3003E 04FB0380
	v_max3_f32 v62, v130, v131, v62                            // 00000000E5C8: D1D3003E 04FB0782
	v_max3_f32 v62, v132, v133, v62                            // 00000000E5D0: D1D3003E 04FB0B84
	v_max3_f32 v62, v134, v135, v62                            // 00000000E5D8: D1D3003E 04FB0F86
	v_max3_f32 v62, v136, v137, v62                            // 00000000E5E0: D1D3003E 04FB1388
	v_max3_f32 v62, v138, v139, v62                            // 00000000E5E8: D1D3003E 04FB178A
	v_max3_f32 v62, v140, v141, v62                            // 00000000E5F0: D1D3003E 04FB1B8C
	v_max3_f32 v62, v142, v143, v62                            // 00000000E5F8: D1D3003E 04FB1F8E
	ds_write_b32 v11, v62 offset:16896                         // 00000000E600: D81A4200 00003E0B
	buffer_load_dwordx4 a[24:27], v28, s[16:19], 0 offen       // 00000000E608: E05C1000 8084181C
	v_mul_u32_u24_dpp v41, v19, v68 row_newbcast:1 row_mask:0xf bank_mask:0xf// 00000000E610: 105288FA FF015113
	v_mul_u32_u24_dpp v42, v19, v68 row_newbcast:5 row_mask:0xf bank_mask:0xf// 00000000E618: 105488FA FF015513
	v_mul_u32_u24_dpp v43, v19, v68 row_newbcast:9 row_mask:0xf bank_mask:0xf// 00000000E620: 105688FA FF015913
	v_mul_u32_u24_dpp v44, v19, v68 row_newbcast:13 row_mask:0xf bank_mask:0xf// 00000000E628: 105888FA FF015D13
	v_add_u32_e32 v33, v41, v7                                 // 00000000E630: 68420F29
	v_add_u32_e32 v34, v42, v7                                 // 00000000E634: 68440F2A
	v_add_u32_e32 v35, v43, v7                                 // 00000000E638: 68460F2B
	v_add_u32_e32 v36, v44, v7                                 // 00000000E63C: 68480F2C
	v_mul_f32_e32 v224, v63, v224                              // 00000000E640: 0BC1C13F
	v_mul_f32_e32 v225, v63, v225                              // 00000000E644: 0BC3C33F
	v_mul_f32_e32 v226, v63, v226                              // 00000000E648: 0BC5C53F
	v_mul_f32_e32 v227, v63, v227                              // 00000000E64C: 0BC7C73F
	v_mul_f32_e32 v228, v63, v228                              // 00000000E650: 0BC9C93F
	v_mul_f32_e32 v229, v63, v229                              // 00000000E654: 0BCBCB3F
	v_mul_f32_e32 v230, v63, v230                              // 00000000E658: 0BCDCD3F
	v_mul_f32_e32 v231, v63, v231                              // 00000000E65C: 0BCFCF3F
	s_waitcnt lgkmcnt(0)                                       // 00000000E660: BF8CC07F
	s_barrier                                                  // 00000000E664: BF8A0000
	ds_read_b32 v80, v10 offset:16896                          // 00000000E668: D86C4200 5000000A
	ds_read_b32 v81, v10 offset:16960                          // 00000000E670: D86C4240 5100000A
	ds_read_b32 v82, v10 offset:17024                          // 00000000E678: D86C4280 5200000A
	ds_read_b32 v83, v10 offset:17088                          // 00000000E680: D86C42C0 5300000A
	ds_read_b32 v84, v10 offset:17152                          // 00000000E688: D86C4300 5400000A
	ds_read_b32 v85, v10 offset:17216                          // 00000000E690: D86C4340 5500000A
	ds_read_b32 v86, v10 offset:17280                          // 00000000E698: D86C4380 5600000A
	ds_read_b32 v87, v10 offset:17344                          // 00000000E6A0: D86C43C0 5700000A
	ds_read_b32 v88, v10 offset:17408                          // 00000000E6A8: D86C4400 5800000A
	ds_read_b32 v89, v10 offset:17472                          // 00000000E6B0: D86C4440 5900000A
	ds_read_b32 v90, v10 offset:17536                          // 00000000E6B8: D86C4480 5A00000A
	ds_read_b32 v91, v10 offset:17600                          // 00000000E6C0: D86C44C0 5B00000A
	ds_read_b32 v92, v10 offset:17664                          // 00000000E6C8: D86C4500 5C00000A
	ds_read_b32 v93, v10 offset:17728                          // 00000000E6D0: D86C4540 5D00000A
	ds_read_b32 v94, v10 offset:17792                          // 00000000E6D8: D86C4580 5E00000A
	ds_read_b32 v95, v10 offset:17856                          // 00000000E6E0: D86C45C0 5F00000A
	buffer_load_dwordx4 a[28:31], v28, s[16:19], 0 offen offset:1024// 00000000E6E8: E05C1400 80841C1C
	v_cvt_f32_i32_e32 v192, v192                               // 00000000E6F0: 7F800BC0
	v_cvt_f32_i32_e32 v193, v193                               // 00000000E6F4: 7F820BC1
	v_cvt_f32_i32_e32 v194, v194                               // 00000000E6F8: 7F840BC2
	v_cvt_f32_i32_e32 v195, v195                               // 00000000E6FC: 7F860BC3
	v_cvt_f32_i32_e32 v196, v196                               // 00000000E700: 7F880BC4
	v_cvt_f32_i32_e32 v197, v197                               // 00000000E704: 7F8A0BC5
	v_cvt_f32_i32_e32 v198, v198                               // 00000000E708: 7F8C0BC6
	v_cvt_f32_i32_e32 v199, v199                               // 00000000E70C: 7F8E0BC7
	v_mul_f32_e32 v192, v58, v192                              // 00000000E710: 0B81813A
	v_mul_f32_e32 v193, v58, v193                              // 00000000E714: 0B83833A
	v_mul_f32_e32 v194, v58, v194                              // 00000000E718: 0B85853A
	v_mul_f32_e32 v195, v58, v195                              // 00000000E71C: 0B87873A
	v_mul_f32_e32 v196, v58, v196                              // 00000000E720: 0B89893A
	v_mul_f32_e32 v197, v58, v197                              // 00000000E724: 0B8B8B3A
	v_mul_f32_e32 v198, v58, v198                              // 00000000E728: 0B8D8D3A
	v_mul_f32_e32 v199, v58, v199                              // 00000000E72C: 0B8F8F3A
	s_waitcnt lgkmcnt(0)                                       // 00000000E730: BF8CC07F
	v_max3_f32 v62, v80, v81, v62                              // 00000000E734: D1D3003E 04FAA350
	v_max3_f32 v62, v82, v83, v62                              // 00000000E73C: D1D3003E 04FAA752
	v_max3_f32 v62, v84, v85, v62                              // 00000000E744: D1D3003E 04FAAB54
	v_max3_f32 v62, v86, v87, v62                              // 00000000E74C: D1D3003E 04FAAF56
	v_max3_f32 v62, v88, v89, v62                              // 00000000E754: D1D3003E 04FAB358
	v_max3_f32 v62, v90, v91, v62                              // 00000000E75C: D1D3003E 04FAB75A
	v_max3_f32 v62, v92, v93, v62                              // 00000000E764: D1D3003E 04FABB5C
	v_max3_f32 v62, v94, v95, v62                              // 00000000E76C: D1D3003E 04FABF5E
	buffer_load_dwordx4 a[64:67], v33, s[20:23], 0 offen       // 00000000E774: E05C1000 80854021
	v_mov_b32_e32 v41, 0xff800000                              // 00000000E77C: 7E5202FF FF800000
	v_cmp_eq_u32_e64 s[40:41], v41, v14                        // 00000000E784: D0CA0028 00021D29
	s_nop 1                                                    // 00000000E78C: BF800001
	v_max_f32_e32 v18, v62, v14                                // 00000000E790: 16241D3E
	v_mul_f32_e32 v67, s64, v18                                // 00000000E794: 0A862440
	v_fma_f32 v128, v128, s64, -v67                            // 00000000E798: D1CB0080 850C8180
	v_fma_f32 v129, v129, s64, -v67                            // 00000000E7A0: D1CB0081 850C8181
	v_fma_f32 v130, v130, s64, -v67                            // 00000000E7A8: D1CB0082 850C8182
	v_fma_f32 v131, v131, s64, -v67                            // 00000000E7B0: D1CB0083 850C8183
	v_fma_f32 v132, v132, s64, -v67                            // 00000000E7B8: D1CB0084 850C8184
	v_fma_f32 v133, v133, s64, -v67                            // 00000000E7C0: D1CB0085 850C8185
	v_fma_f32 v134, v134, s64, -v67                            // 00000000E7C8: D1CB0086 850C8186
	v_fma_f32 v135, v135, s64, -v67                            // 00000000E7D0: D1CB0087 850C8187
	v_fma_f32 v136, v136, s64, -v67                            // 00000000E7D8: D1CB0088 850C8188
	v_fma_f32 v137, v137, s64, -v67                            // 00000000E7E0: D1CB0089 850C8189
	v_fma_f32 v138, v138, s64, -v67                            // 00000000E7E8: D1CB008A 850C818A
	v_fma_f32 v139, v139, s64, -v67                            // 00000000E7F0: D1CB008B 850C818B
	v_fma_f32 v140, v140, s64, -v67                            // 00000000E7F8: D1CB008C 850C818C
	v_fma_f32 v141, v141, s64, -v67                            // 00000000E800: D1CB008D 850C818D
	v_fma_f32 v142, v142, s64, -v67                            // 00000000E808: D1CB008E 850C818E
	v_fma_f32 v143, v143, s64, -v67                            // 00000000E810: D1CB008F 850C818F
	buffer_load_dwordx4 a[68:71], v34, s[20:23], 0 offen       // 00000000E818: E05C1000 80854422
	v_exp_f32_e32 v128, v128                                   // 00000000E820: 7F004180
	v_exp_f32_e32 v129, v129                                   // 00000000E824: 7F024181
	v_exp_f32_e32 v130, v130                                   // 00000000E828: 7F044182
	v_exp_f32_e32 v131, v131                                   // 00000000E82C: 7F064183
	v_exp_f32_e32 v132, v132                                   // 00000000E830: 7F084184
	v_exp_f32_e32 v133, v133                                   // 00000000E834: 7F0A4185
	v_exp_f32_e32 v134, v134                                   // 00000000E838: 7F0C4186
	v_exp_f32_e32 v135, v135                                   // 00000000E83C: 7F0E4187
	v_exp_f32_e32 v136, v136                                   // 00000000E840: 7F104188
	v_exp_f32_e32 v137, v137                                   // 00000000E844: 7F124189
	v_exp_f32_e32 v138, v138                                   // 00000000E848: 7F14418A
	v_exp_f32_e32 v139, v139                                   // 00000000E84C: 7F16418B
	v_exp_f32_e32 v140, v140                                   // 00000000E850: 7F18418C
	v_exp_f32_e32 v141, v141                                   // 00000000E854: 7F1A418D
	v_exp_f32_e32 v142, v142                                   // 00000000E858: 7F1C418E
	v_exp_f32_e32 v143, v143                                   // 00000000E85C: 7F1E418F
	buffer_load_dwordx4 a[72:75], v35, s[20:23], 0 offen       // 00000000E860: E05C1000 80854823
	v_mul_f32_dpp v240, v252, v128 quad_perm:[0,0,0,0] row_mask:0xf bank_mask:0xf// 00000000E868: 0BE100FA FF0000FC
	v_mul_f32_dpp v241, v252, v129 quad_perm:[1,1,1,1] row_mask:0xf bank_mask:0xf// 00000000E870: 0BE302FA FF0055FC
	v_mul_f32_dpp v242, v252, v130 quad_perm:[2,2,2,2] row_mask:0xf bank_mask:0xf// 00000000E878: 0BE504FA FF00AAFC
	v_mul_f32_dpp v243, v252, v131 quad_perm:[3,3,3,3] row_mask:0xf bank_mask:0xf// 00000000E880: 0BE706FA FF00FFFC
	v_mul_f32_dpp v244, v253, v132 quad_perm:[0,0,0,0] row_mask:0xf bank_mask:0xf// 00000000E888: 0BE908FA FF0000FD
	v_mul_f32_dpp v245, v253, v133 quad_perm:[1,1,1,1] row_mask:0xf bank_mask:0xf// 00000000E890: 0BEB0AFA FF0055FD
	v_mul_f32_dpp v246, v253, v134 quad_perm:[2,2,2,2] row_mask:0xf bank_mask:0xf// 00000000E898: 0BED0CFA FF00AAFD
	v_mul_f32_dpp v247, v253, v135 quad_perm:[3,3,3,3] row_mask:0xf bank_mask:0xf// 00000000E8A0: 0BEF0EFA FF00FFFD
	v_mul_f32_dpp v248, v254, v136 quad_perm:[0,0,0,0] row_mask:0xf bank_mask:0xf// 00000000E8A8: 0BF110FA FF0000FE
	v_mul_f32_dpp v249, v254, v137 quad_perm:[1,1,1,1] row_mask:0xf bank_mask:0xf// 00000000E8B0: 0BF312FA FF0055FE
	v_mul_f32_dpp v250, v254, v138 quad_perm:[2,2,2,2] row_mask:0xf bank_mask:0xf// 00000000E8B8: 0BF514FA FF00AAFE
	v_mul_f32_dpp v251, v254, v139 quad_perm:[3,3,3,3] row_mask:0xf bank_mask:0xf// 00000000E8C0: 0BF716FA FF00FFFE
	v_mul_f32_dpp v252, v255, v140 quad_perm:[0,0,0,0] row_mask:0xf bank_mask:0xf// 00000000E8C8: 0BF918FA FF0000FF
	v_mul_f32_dpp v253, v255, v141 quad_perm:[1,1,1,1] row_mask:0xf bank_mask:0xf// 00000000E8D0: 0BFB1AFA FF0055FF
	v_mul_f32_dpp v254, v255, v142 quad_perm:[2,2,2,2] row_mask:0xf bank_mask:0xf// 00000000E8D8: 0BFD1CFA FF00AAFF
	v_mul_f32_dpp v255, v255, v143 quad_perm:[3,3,3,3] row_mask:0xf bank_mask:0xf// 00000000E8E0: 0BFF1EFA FF00FFFF
	v_mov_b32_e32 v62, 0x358637bd                              // 00000000E8E8: 7E7C02FF 358637BD
	v_max3_f32 v62, |v240|, |v241|, v62                        // 00000000E8F0: D1D3033E 04FBE3F0
	v_max3_f32 v62, |v242|, |v243|, v62                        // 00000000E8F8: D1D3033E 04FBE7F2
	v_max3_f32 v62, |v244|, |v245|, v62                        // 00000000E900: D1D3033E 04FBEBF4
	v_max3_f32 v62, |v246|, |v247|, v62                        // 00000000E908: D1D3033E 04FBEFF6
	v_max3_f32 v62, |v248|, |v249|, v62                        // 00000000E910: D1D3033E 04FBF3F8
	v_max3_f32 v62, |v250|, |v251|, v62                        // 00000000E918: D1D3033E 04FBF7FA
	v_max3_f32 v62, |v252|, |v253|, v62                        // 00000000E920: D1D3033E 04FBFBFC
	v_max3_f32 v62, |v254|, |v255|, v62                        // 00000000E928: D1D3033E 04FBFFFE
	buffer_load_dwordx4 a[76:79], v36, s[20:23], 0 offen       // 00000000E930: E05C1000 80854C24
	ds_write_b32 v11, v62 offset:20992                         // 00000000E938: D81A5200 00003E0B
	v_sub_f32_e32 v63, v14, v18                                // 00000000E940: 047E250E
	v_cndmask_b32_e64 v63, v63, 0, s[40:41]                    // 00000000E944: D100003F 00A1013F
	v_mov_b32_e32 v14, v18                                     // 00000000E94C: 7E1C0312
	v_mul_f32_e32 v63, s64, v63                                // 00000000E950: 0A7E7E40
	v_exp_f32_e32 v63, v63                                     // 00000000E954: 7E7E413F
	s_waitcnt lgkmcnt(0)                                       // 00000000E958: BF8CC07F
	s_barrier                                                  // 00000000E95C: BF8A0000
	ds_read_b32 v80, v10 offset:20992                          // 00000000E960: D86C5200 5000000A
	ds_read_b32 v81, v10 offset:21056                          // 00000000E968: D86C5240 5100000A
	ds_read_b32 v82, v10 offset:21120                          // 00000000E970: D86C5280 5200000A
	ds_read_b32 v83, v10 offset:21184                          // 00000000E978: D86C52C0 5300000A
	ds_read_b32 v84, v10 offset:21248                          // 00000000E980: D86C5300 5400000A
	ds_read_b32 v85, v10 offset:21312                          // 00000000E988: D86C5340 5500000A
	ds_read_b32 v86, v10 offset:21376                          // 00000000E990: D86C5380 5600000A
	ds_read_b32 v87, v10 offset:21440                          // 00000000E998: D86C53C0 5700000A
	ds_read_b32 v88, v10 offset:21504                          // 00000000E9A0: D86C5400 5800000A
	ds_read_b32 v89, v10 offset:21568                          // 00000000E9A8: D86C5440 5900000A
	ds_read_b32 v90, v10 offset:21632                          // 00000000E9B0: D86C5480 5A00000A
	ds_read_b32 v91, v10 offset:21696                          // 00000000E9B8: D86C54C0 5B00000A
	ds_read_b32 v92, v10 offset:21760                          // 00000000E9C0: D86C5500 5C00000A
	ds_read_b32 v93, v10 offset:21824                          // 00000000E9C8: D86C5540 5D00000A
	ds_read_b32 v94, v10 offset:21888                          // 00000000E9D0: D86C5580 5E00000A
	ds_read_b32 v95, v10 offset:21952                          // 00000000E9D8: D86C55C0 5F00000A
	v_mul_f32_e32 v47, v63, v47                                // 00000000E9E0: 0A5E5F3F
	v_mov_b32_e32 v18, v128                                    // 00000000E9E4: 7E240380
	v_add_f32_e32 v18, v129, v18                               // 00000000E9E8: 02242581
	v_add_f32_e32 v18, v130, v18                               // 00000000E9EC: 02242582
	v_add_f32_e32 v18, v131, v18                               // 00000000E9F0: 02242583
	v_add_f32_e32 v18, v132, v18                               // 00000000E9F4: 02242584
	v_add_f32_e32 v18, v133, v18                               // 00000000E9F8: 02242585
	v_add_f32_e32 v18, v134, v18                               // 00000000E9FC: 02242586
	v_add_f32_e32 v18, v135, v18                               // 00000000EA00: 02242587
	v_add_f32_e32 v18, v136, v18                               // 00000000EA04: 02242588
	v_add_f32_e32 v18, v137, v18                               // 00000000EA08: 02242589
	v_add_f32_e32 v18, v138, v18                               // 00000000EA0C: 0224258A
	v_add_f32_e32 v18, v139, v18                               // 00000000EA10: 0224258B
	v_add_f32_e32 v18, v140, v18                               // 00000000EA14: 0224258C
	v_add_f32_e32 v18, v141, v18                               // 00000000EA18: 0224258D
	v_add_f32_e32 v18, v142, v18                               // 00000000EA1C: 0224258E
	v_add_f32_e32 v18, v143, v18                               // 00000000EA20: 0224258F
	v_add_f32_e32 v47, v18, v47                                // 00000000EA24: 025E5F12
	s_waitcnt lgkmcnt(0)                                       // 00000000EA28: BF8CC07F
	v_max3_f32 v62, |v80|, |v81|, v62                          // 00000000EA2C: D1D3033E 04FAA350
	v_max3_f32 v62, |v82|, |v83|, v62                          // 00000000EA34: D1D3033E 04FAA752
	v_max3_f32 v62, |v84|, |v85|, v62                          // 00000000EA3C: D1D3033E 04FAAB54
	v_max3_f32 v62, |v86|, |v87|, v62                          // 00000000EA44: D1D3033E 04FAAF56
	v_max3_f32 v62, |v88|, |v89|, v62                          // 00000000EA4C: D1D3033E 04FAB358
	v_max3_f32 v62, |v90|, |v91|, v62                          // 00000000EA54: D1D3033E 04FAB75A
	v_max3_f32 v62, |v92|, |v93|, v62                          // 00000000EA5C: D1D3033E 04FABB5C
	v_max3_f32 v62, |v94|, |v95|, v62                          // 00000000EA64: D1D3033E 04FABF5E
	s_nop 2                                                    // 00000000EA6C: BF800002
	v_rcp_f32_e32 v62, v62                                     // 00000000EA70: 7E7C453E
	s_nop 1                                                    // 00000000EA74: BF800001
	v_mul_f32_e32 v62, 0x42fe0000, v62                         // 00000000EA78: 0A7C7CFF 42FE0000
	v_mul_f32_e32 v128, v62, v240                              // 00000000EA80: 0B01E13E
	v_mul_f32_e32 v129, v62, v241                              // 00000000EA84: 0B03E33E
	v_mul_f32_e32 v130, v62, v242                              // 00000000EA88: 0B05E53E
	v_mul_f32_e32 v131, v62, v243                              // 00000000EA8C: 0B07E73E
	v_mul_f32_e32 v132, v62, v244                              // 00000000EA90: 0B09E93E
	v_mul_f32_e32 v133, v62, v245                              // 00000000EA94: 0B0BEB3E
	v_mul_f32_e32 v134, v62, v246                              // 00000000EA98: 0B0DED3E
	v_mul_f32_e32 v135, v62, v247                              // 00000000EA9C: 0B0FEF3E
	v_mul_f32_e32 v136, v62, v248                              // 00000000EAA0: 0B11F13E
	v_mul_f32_e32 v137, v62, v249                              // 00000000EAA4: 0B13F33E
	v_mul_f32_e32 v138, v62, v250                              // 00000000EAA8: 0B15F53E
	v_mul_f32_e32 v139, v62, v251                              // 00000000EAAC: 0B17F73E
	v_mul_f32_e32 v140, v62, v252                              // 00000000EAB0: 0B19F93E
	v_mul_f32_e32 v141, v62, v253                              // 00000000EAB4: 0B1BFB3E
	v_mul_f32_e32 v142, v62, v254                              // 00000000EAB8: 0B1DFD3E
	v_mul_f32_e32 v143, v62, v255                              // 00000000EABC: 0B1FFF3E
	v_cvt_i32_f32_e32 v128, v128                               // 00000000EAC0: 7F001180
	v_cvt_i32_f32_e32 v129, v129                               // 00000000EAC4: 7F021181
	v_cvt_i32_f32_e32 v130, v130                               // 00000000EAC8: 7F041182
	v_cvt_i32_f32_e32 v131, v131                               // 00000000EACC: 7F061183
	v_cvt_i32_f32_e32 v132, v132                               // 00000000EAD0: 7F081184
	v_cvt_i32_f32_e32 v133, v133                               // 00000000EAD4: 7F0A1185
	v_cvt_i32_f32_e32 v134, v134                               // 00000000EAD8: 7F0C1186
	v_cvt_i32_f32_e32 v135, v135                               // 00000000EADC: 7F0E1187
	v_cvt_i32_f32_e32 v136, v136                               // 00000000EAE0: 7F101188
	v_cvt_i32_f32_e32 v137, v137                               // 00000000EAE4: 7F121189
	v_cvt_i32_f32_e32 v138, v138                               // 00000000EAE8: 7F14118A
	v_cvt_i32_f32_e32 v139, v139                               // 00000000EAEC: 7F16118B
	v_cvt_i32_f32_e32 v140, v140                               // 00000000EAF0: 7F18118C
	v_cvt_i32_f32_e32 v141, v141                               // 00000000EAF4: 7F1A118D
	v_cvt_i32_f32_e32 v142, v142                               // 00000000EAF8: 7F1C118E
	v_cvt_i32_f32_e32 v143, v143                               // 00000000EAFC: 7F1E118F
	v_perm_b32 v128, v129, v128, s53                           // 00000000EB00: D1ED0080 00D70181
	v_perm_b32 v128, v130, v128, s54                           // 00000000EB08: D1ED0080 00DB0182
	v_perm_b32 v128, v131, v128, s55                           // 00000000EB10: D1ED0080 00DF0183
	v_perm_b32 v129, v133, v132, s53                           // 00000000EB18: D1ED0081 00D70985
	v_perm_b32 v129, v134, v129, s54                           // 00000000EB20: D1ED0081 00DB0386
	v_perm_b32 v129, v135, v129, s55                           // 00000000EB28: D1ED0081 00DF0387
	v_perm_b32 v130, v137, v136, s53                           // 00000000EB30: D1ED0082 00D71189
	v_perm_b32 v130, v138, v130, s54                           // 00000000EB38: D1ED0082 00DB058A
	v_perm_b32 v130, v139, v130, s55                           // 00000000EB40: D1ED0082 00DF058B
	v_perm_b32 v131, v141, v140, s53                           // 00000000EB48: D1ED0083 00D7198D
	v_perm_b32 v131, v142, v131, s54                           // 00000000EB50: D1ED0083 00DB078E
	v_perm_b32 v131, v143, v131, s55                           // 00000000EB58: D1ED0083 00DF078F
	ds_write_b32 v13, v128 offset:25088                        // 00000000EB60: D81A6200 0000800D
	ds_write_b32 v13, v129 offset:26112                        // 00000000EB68: D81A6600 0000810D
	ds_write_b32 v13, v130 offset:27136                        // 00000000EB70: D81A6A00 0000820D
	ds_write_b32 v13, v131 offset:28160                        // 00000000EB78: D81A6E00 0000830D
	v_add_f32_e32 v224, v224, v192                             // 00000000EB80: 03C181E0
	v_add_f32_e32 v225, v225, v193                             // 00000000EB84: 03C383E1
	v_add_f32_e32 v226, v226, v194                             // 00000000EB88: 03C585E2
	v_add_f32_e32 v227, v227, v195                             // 00000000EB8C: 03C787E3
	v_add_f32_e32 v228, v228, v196                             // 00000000EB90: 03C989E4
	v_add_f32_e32 v229, v229, v197                             // 00000000EB94: 03CB8BE5
	v_add_f32_e32 v230, v230, v198                             // 00000000EB98: 03CD8DE6
	v_add_f32_e32 v231, v231, v199                             // 00000000EB9C: 03CF8FE7
	v_rcp_f32_e32 v58, v62                                     // 00000000EBA0: 7E74453E
	s_waitcnt lgkmcnt(0)                                       // 00000000EBA4: BF8CC07F
	s_barrier                                                  // 00000000EBA8: BF8A0000
	ds_read_b64 v[128:129], v12 offset:25088                   // 00000000EBAC: D8EC6200 8000000C
	ds_read_b64 v[130:131], v12 offset:25216                   // 00000000EBB4: D8EC6280 8200000C
	ds_read_b64 v[132:133], v12 offset:26112                   // 00000000EBBC: D8EC6600 8400000C
	ds_read_b64 v[134:135], v12 offset:26240                   // 00000000EBC4: D8EC6680 8600000C
	ds_read_b64 v[136:137], v12 offset:27136                   // 00000000EBCC: D8EC6A00 8800000C
	ds_read_b64 v[138:139], v12 offset:27264                   // 00000000EBD4: D8EC6A80 8A00000C
	ds_read_b64 v[140:141], v12 offset:28160                   // 00000000EBDC: D8EC6E00 8C00000C
	ds_read_b64 v[142:143], v12 offset:28288                   // 00000000EBE4: D8EC6E80 8E00000C
	v_mov_b32_dpp v41, v53 row_shr:4 row_mask:0xf bank_mask:0xf// 00000000EBEC: 7E5202FA FF011435
	v_mov_b32_dpp v42, v53 row_shl:4 row_mask:0xf bank_mask:0xf// 00000000EBF4: 7E5402FA FF010435
	v_cndmask_b32_e64 v248, v53, v41, s[44:45]                 // 00000000EBFC: D10000F8 00B25335
	v_cndmask_b32_e64 v249, v42, v53, s[44:45]                 // 00000000EC04: D10000F9 00B26B2A
	v_mov_b32_dpp v41, v248 row_shr:8 row_mask:0xf bank_mask:0xf// 00000000EC0C: 7E5202FA FF0118F8
	v_mov_b32_dpp v42, v248 row_shl:8 row_mask:0xf bank_mask:0xf// 00000000EC14: 7E5402FA FF0108F8
	v_mov_b32_dpp v43, v249 row_shr:8 row_mask:0xf bank_mask:0xf// 00000000EC1C: 7E5602FA FF0118F9
	v_mov_b32_dpp v44, v249 row_shl:8 row_mask:0xf bank_mask:0xf// 00000000EC24: 7E5802FA FF0108F9
	v_mov_b32_e32 v45, v248                                    // 00000000EC2C: 7E5A03F8
	v_mov_b32_e32 v46, v249                                    // 00000000EC30: 7E5C03F9
	v_cndmask_b32_e64 v248, v45, v41, s[42:43]                 // 00000000EC34: D10000F8 00AA532D
	v_cndmask_b32_e64 v250, v45, v42, s[78:79]                 // 00000000EC3C: D10000FA 013A552D
	v_cndmask_b32_e64 v249, v46, v43, s[42:43]                 // 00000000EC44: D10000F9 00AA572E
	v_cndmask_b32_e64 v251, v46, v44, s[78:79]                 // 00000000EC4C: D10000FB 013A592E
	v_mov_b32_dpp v41, v73 row_shr:4 row_mask:0xf bank_mask:0xf// 00000000EC54: 7E5202FA FF011449
	v_mov_b32_dpp v42, v73 row_shl:4 row_mask:0xf bank_mask:0xf// 00000000EC5C: 7E5402FA FF010449
	v_cndmask_b32_e64 v252, v73, v41, s[44:45]                 // 00000000EC64: D10000FC 00B25349
	v_cndmask_b32_e64 v253, v42, v73, s[44:45]                 // 00000000EC6C: D10000FD 00B2932A
	v_mov_b32_dpp v41, v252 row_shr:8 row_mask:0xf bank_mask:0xf// 00000000EC74: 7E5202FA FF0118FC
	v_mov_b32_dpp v42, v252 row_shl:8 row_mask:0xf bank_mask:0xf// 00000000EC7C: 7E5402FA FF0108FC
	v_mov_b32_dpp v43, v253 row_shr:8 row_mask:0xf bank_mask:0xf// 00000000EC84: 7E5602FA FF0118FD
	v_mov_b32_dpp v44, v253 row_shl:8 row_mask:0xf bank_mask:0xf// 00000000EC8C: 7E5802FA FF0108FD
	v_mov_b32_e32 v45, v252                                    // 00000000EC94: 7E5A03FC
	v_mov_b32_e32 v46, v253                                    // 00000000EC98: 7E5C03FD
	v_cndmask_b32_e64 v252, v45, v41, s[42:43]                 // 00000000EC9C: D10000FC 00AA532D
	v_cndmask_b32_e64 v254, v45, v42, s[78:79]                 // 00000000ECA4: D10000FE 013A552D
	v_cndmask_b32_e64 v253, v46, v43, s[42:43]                 // 00000000ECAC: D10000FD 00AA572E
	v_cndmask_b32_e64 v255, v46, v44, s[78:79]                 // 00000000ECB4: D10000FF 013A592E
	v_cvt_f32_i32_e32 v144, v144                               // 00000000ECBC: 7F200B90
	v_cvt_f32_i32_e32 v145, v145                               // 00000000ECC0: 7F220B91
	v_cvt_f32_i32_e32 v146, v146                               // 00000000ECC4: 7F240B92
	v_cvt_f32_i32_e32 v147, v147                               // 00000000ECC8: 7F260B93
	v_cvt_f32_i32_e32 v148, v148                               // 00000000ECCC: 7F280B94
	v_cvt_f32_i32_e32 v149, v149                               // 00000000ECD0: 7F2A0B95
	v_cvt_f32_i32_e32 v150, v150                               // 00000000ECD4: 7F2C0B96
	v_cvt_f32_i32_e32 v151, v151                               // 00000000ECD8: 7F2E0B97
	v_cvt_f32_i32_e32 v152, v152                               // 00000000ECDC: 7F300B98
	v_cvt_f32_i32_e32 v153, v153                               // 00000000ECE0: 7F320B99
	v_cvt_f32_i32_e32 v154, v154                               // 00000000ECE4: 7F340B9A
	v_cvt_f32_i32_e32 v155, v155                               // 00000000ECE8: 7F360B9B
	v_cvt_f32_i32_e32 v156, v156                               // 00000000ECEC: 7F380B9C
	v_cvt_f32_i32_e32 v157, v157                               // 00000000ECF0: 7F3A0B9D
	v_cvt_f32_i32_e32 v158, v158                               // 00000000ECF4: 7F3C0B9E
	v_cvt_f32_i32_e32 v159, v159                               // 00000000ECF8: 7F3E0B9F
	v_mul_f32_e32 v144, v55, v144                              // 00000000ECFC: 0B212137
	v_mul_f32_e32 v145, v55, v145                              // 00000000ED00: 0B232337
	v_mul_f32_e32 v146, v55, v146                              // 00000000ED04: 0B252537
	v_mul_f32_e32 v147, v55, v147                              // 00000000ED08: 0B272737
	v_mul_f32_e32 v148, v55, v148                              // 00000000ED0C: 0B292937
	v_mul_f32_e32 v149, v55, v149                              // 00000000ED10: 0B2B2B37
	v_mul_f32_e32 v150, v55, v150                              // 00000000ED14: 0B2D2D37
	v_mul_f32_e32 v151, v55, v151                              // 00000000ED18: 0B2F2F37
	v_mul_f32_e32 v152, v55, v152                              // 00000000ED1C: 0B313137
	v_mul_f32_e32 v153, v55, v153                              // 00000000ED20: 0B333337
	v_mul_f32_e32 v154, v55, v154                              // 00000000ED24: 0B353537
	v_mul_f32_e32 v155, v55, v155                              // 00000000ED28: 0B373737
	v_mul_f32_e32 v156, v55, v156                              // 00000000ED2C: 0B393937
	v_mul_f32_e32 v157, v55, v157                              // 00000000ED30: 0B3B3B37
	v_mul_f32_e32 v158, v55, v158                              // 00000000ED34: 0B3D3D37
	v_mul_f32_e32 v159, v55, v159                              // 00000000ED38: 0B3F3F37
	v_mul_f32_dpp v144, v248, v144 quad_perm:[0,0,0,0] row_mask:0xf bank_mask:0xf// 00000000ED3C: 0B2120FA FF0000F8
	v_mul_f32_dpp v145, v248, v145 quad_perm:[1,1,1,1] row_mask:0xf bank_mask:0xf// 00000000ED44: 0B2322FA FF0055F8
	v_mul_f32_dpp v146, v248, v146 quad_perm:[2,2,2,2] row_mask:0xf bank_mask:0xf// 00000000ED4C: 0B2524FA FF00AAF8
	v_mul_f32_dpp v147, v248, v147 quad_perm:[3,3,3,3] row_mask:0xf bank_mask:0xf// 00000000ED54: 0B2726FA FF00FFF8
	v_mul_f32_dpp v148, v249, v148 quad_perm:[0,0,0,0] row_mask:0xf bank_mask:0xf// 00000000ED5C: 0B2928FA FF0000F9
	v_mul_f32_dpp v149, v249, v149 quad_perm:[1,1,1,1] row_mask:0xf bank_mask:0xf// 00000000ED64: 0B2B2AFA FF0055F9
	v_mul_f32_dpp v150, v249, v150 quad_perm:[2,2,2,2] row_mask:0xf bank_mask:0xf// 00000000ED6C: 0B2D2CFA FF00AAF9
	v_mul_f32_dpp v151, v249, v151 quad_perm:[3,3,3,3] row_mask:0xf bank_mask:0xf// 00000000ED74: 0B2F2EFA FF00FFF9
	v_mul_f32_dpp v152, v250, v152 quad_perm:[0,0,0,0] row_mask:0xf bank_mask:0xf// 00000000ED7C: 0B3130FA FF0000FA
	v_mul_f32_dpp v153, v250, v153 quad_perm:[1,1,1,1] row_mask:0xf bank_mask:0xf// 00000000ED84: 0B3332FA FF0055FA
	v_mul_f32_dpp v154, v250, v154 quad_perm:[2,2,2,2] row_mask:0xf bank_mask:0xf// 00000000ED8C: 0B3534FA FF00AAFA
	v_mul_f32_dpp v155, v250, v155 quad_perm:[3,3,3,3] row_mask:0xf bank_mask:0xf// 00000000ED94: 0B3736FA FF00FFFA
	v_mul_f32_dpp v156, v251, v156 quad_perm:[0,0,0,0] row_mask:0xf bank_mask:0xf// 00000000ED9C: 0B3938FA FF0000FB
	v_mul_f32_dpp v157, v251, v157 quad_perm:[1,1,1,1] row_mask:0xf bank_mask:0xf// 00000000EDA4: 0B3B3AFA FF0055FB
	v_mul_f32_dpp v158, v251, v158 quad_perm:[2,2,2,2] row_mask:0xf bank_mask:0xf// 00000000EDAC: 0B3D3CFA FF00AAFB
	v_mul_f32_dpp v159, v251, v159 quad_perm:[3,3,3,3] row_mask:0xf bank_mask:0xf// 00000000EDB4: 0B3F3EFA FF00FFFB
	v_mov_b32_e32 v62, v144                                    // 00000000EDBC: 7E7C0390
	v_max3_f32 v62, v144, v145, v62                            // 00000000EDC0: D1D3003E 04FB2390
	v_max3_f32 v62, v146, v147, v62                            // 00000000EDC8: D1D3003E 04FB2792
	v_max3_f32 v62, v148, v149, v62                            // 00000000EDD0: D1D3003E 04FB2B94
	v_max3_f32 v62, v150, v151, v62                            // 00000000EDD8: D1D3003E 04FB2F96
	v_max3_f32 v62, v152, v153, v62                            // 00000000EDE0: D1D3003E 04FB3398
	v_max3_f32 v62, v154, v155, v62                            // 00000000EDE8: D1D3003E 04FB379A
	v_max3_f32 v62, v156, v157, v62                            // 00000000EDF0: D1D3003E 04FB3B9C
	v_max3_f32 v62, v158, v159, v62                            // 00000000EDF8: D1D3003E 04FB3F9E
	ds_write_b32 v11, v62 offset:16896                         // 00000000EE00: D81A4200 00003E0B
	v_mul_f32_e32 v232, v64, v232                              // 00000000EE08: 0BD1D140
	v_mul_f32_e32 v233, v64, v233                              // 00000000EE0C: 0BD3D340
	v_mul_f32_e32 v234, v64, v234                              // 00000000EE10: 0BD5D540
	v_mul_f32_e32 v235, v64, v235                              // 00000000EE14: 0BD7D740
	v_mul_f32_e32 v236, v64, v236                              // 00000000EE18: 0BD9D940
	v_mul_f32_e32 v237, v64, v237                              // 00000000EE1C: 0BDBDB40
	v_mul_f32_e32 v238, v64, v238                              // 00000000EE20: 0BDDDD40
	v_mul_f32_e32 v239, v64, v239                              // 00000000EE24: 0BDFDF40
	s_waitcnt lgkmcnt(0)                                       // 00000000EE28: BF8CC07F
	s_barrier                                                  // 00000000EE2C: BF8A0000
	ds_read_b32 v80, v10 offset:16896                          // 00000000EE30: D86C4200 5000000A
	ds_read_b32 v81, v10 offset:16960                          // 00000000EE38: D86C4240 5100000A
	ds_read_b32 v82, v10 offset:17024                          // 00000000EE40: D86C4280 5200000A
	ds_read_b32 v83, v10 offset:17088                          // 00000000EE48: D86C42C0 5300000A
	ds_read_b32 v84, v10 offset:17152                          // 00000000EE50: D86C4300 5400000A
	ds_read_b32 v85, v10 offset:17216                          // 00000000EE58: D86C4340 5500000A
	ds_read_b32 v86, v10 offset:17280                          // 00000000EE60: D86C4380 5600000A
	ds_read_b32 v87, v10 offset:17344                          // 00000000EE68: D86C43C0 5700000A
	ds_read_b32 v88, v10 offset:17408                          // 00000000EE70: D86C4400 5800000A
	ds_read_b32 v89, v10 offset:17472                          // 00000000EE78: D86C4440 5900000A
	ds_read_b32 v90, v10 offset:17536                          // 00000000EE80: D86C4480 5A00000A
	ds_read_b32 v91, v10 offset:17600                          // 00000000EE88: D86C44C0 5B00000A
	ds_read_b32 v92, v10 offset:17664                          // 00000000EE90: D86C4500 5C00000A
	ds_read_b32 v93, v10 offset:17728                          // 00000000EE98: D86C4540 5D00000A
	ds_read_b32 v94, v10 offset:17792                          // 00000000EEA0: D86C4580 5E00000A
	ds_read_b32 v95, v10 offset:17856                          // 00000000EEA8: D86C45C0 5F00000A
	v_cvt_f32_i32_e32 v200, v200                               // 00000000EEB0: 7F900BC8
	v_cvt_f32_i32_e32 v201, v201                               // 00000000EEB4: 7F920BC9
	v_cvt_f32_i32_e32 v202, v202                               // 00000000EEB8: 7F940BCA
	v_cvt_f32_i32_e32 v203, v203                               // 00000000EEBC: 7F960BCB
	v_cvt_f32_i32_e32 v204, v204                               // 00000000EEC0: 7F980BCC
	v_cvt_f32_i32_e32 v205, v205                               // 00000000EEC4: 7F9A0BCD
	v_cvt_f32_i32_e32 v206, v206                               // 00000000EEC8: 7F9C0BCE
	v_cvt_f32_i32_e32 v207, v207                               // 00000000EECC: 7F9E0BCF
	v_mul_f32_e32 v200, v59, v200                              // 00000000EED0: 0B91913B
	v_mul_f32_e32 v201, v59, v201                              // 00000000EED4: 0B93933B
	v_mul_f32_e32 v202, v59, v202                              // 00000000EED8: 0B95953B
	v_mul_f32_e32 v203, v59, v203                              // 00000000EEDC: 0B97973B
	v_mul_f32_e32 v204, v59, v204                              // 00000000EEE0: 0B99993B
	v_mul_f32_e32 v205, v59, v205                              // 00000000EEE4: 0B9B9B3B
	v_mul_f32_e32 v206, v59, v206                              // 00000000EEE8: 0B9D9D3B
	v_mul_f32_e32 v207, v59, v207                              // 00000000EEEC: 0B9F9F3B
	s_waitcnt lgkmcnt(0)                                       // 00000000EEF0: BF8CC07F
	v_max3_f32 v62, v80, v81, v62                              // 00000000EEF4: D1D3003E 04FAA350
	v_max3_f32 v62, v82, v83, v62                              // 00000000EEFC: D1D3003E 04FAA752
	v_max3_f32 v62, v84, v85, v62                              // 00000000EF04: D1D3003E 04FAAB54
	v_max3_f32 v62, v86, v87, v62                              // 00000000EF0C: D1D3003E 04FAAF56
	v_max3_f32 v62, v88, v89, v62                              // 00000000EF14: D1D3003E 04FAB358
	v_max3_f32 v62, v90, v91, v62                              // 00000000EF1C: D1D3003E 04FAB75A
	v_max3_f32 v62, v92, v93, v62                              // 00000000EF24: D1D3003E 04FABB5C
	v_max3_f32 v62, v94, v95, v62                              // 00000000EF2C: D1D3003E 04FABF5E
	v_mov_b32_e32 v41, 0xff800000                              // 00000000EF34: 7E5202FF FF800000
	v_cmp_eq_u32_e64 s[40:41], v41, v15                        // 00000000EF3C: D0CA0028 00021F29
	s_nop 1                                                    // 00000000EF44: BF800001
	v_max_f32_e32 v18, v62, v15                                // 00000000EF48: 16241F3E
	v_mul_f32_e32 v67, s64, v18                                // 00000000EF4C: 0A862440
	v_fma_f32 v144, v144, s64, -v67                            // 00000000EF50: D1CB0090 850C8190
	v_fma_f32 v145, v145, s64, -v67                            // 00000000EF58: D1CB0091 850C8191
	v_fma_f32 v146, v146, s64, -v67                            // 00000000EF60: D1CB0092 850C8192
	v_fma_f32 v147, v147, s64, -v67                            // 00000000EF68: D1CB0093 850C8193
	v_fma_f32 v148, v148, s64, -v67                            // 00000000EF70: D1CB0094 850C8194
	v_fma_f32 v149, v149, s64, -v67                            // 00000000EF78: D1CB0095 850C8195
	v_fma_f32 v150, v150, s64, -v67                            // 00000000EF80: D1CB0096 850C8196
	v_fma_f32 v151, v151, s64, -v67                            // 00000000EF88: D1CB0097 850C8197
	v_fma_f32 v152, v152, s64, -v67                            // 00000000EF90: D1CB0098 850C8198
	v_fma_f32 v153, v153, s64, -v67                            // 00000000EF98: D1CB0099 850C8199
	v_fma_f32 v154, v154, s64, -v67                            // 00000000EFA0: D1CB009A 850C819A
	v_fma_f32 v155, v155, s64, -v67                            // 00000000EFA8: D1CB009B 850C819B
	v_fma_f32 v156, v156, s64, -v67                            // 00000000EFB0: D1CB009C 850C819C
	v_fma_f32 v157, v157, s64, -v67                            // 00000000EFB8: D1CB009D 850C819D
	v_fma_f32 v158, v158, s64, -v67                            // 00000000EFC0: D1CB009E 850C819E
	v_fma_f32 v159, v159, s64, -v67                            // 00000000EFC8: D1CB009F 850C819F
	v_exp_f32_e32 v144, v144                                   // 00000000EFD0: 7F204190
	v_exp_f32_e32 v145, v145                                   // 00000000EFD4: 7F224191
	v_exp_f32_e32 v146, v146                                   // 00000000EFD8: 7F244192
	v_exp_f32_e32 v147, v147                                   // 00000000EFDC: 7F264193
	v_exp_f32_e32 v148, v148                                   // 00000000EFE0: 7F284194
	v_exp_f32_e32 v149, v149                                   // 00000000EFE4: 7F2A4195
	v_exp_f32_e32 v150, v150                                   // 00000000EFE8: 7F2C4196
	v_exp_f32_e32 v151, v151                                   // 00000000EFEC: 7F2E4197
	v_exp_f32_e32 v152, v152                                   // 00000000EFF0: 7F304198
	v_exp_f32_e32 v153, v153                                   // 00000000EFF4: 7F324199
	v_exp_f32_e32 v154, v154                                   // 00000000EFF8: 7F34419A
	v_exp_f32_e32 v155, v155                                   // 00000000EFFC: 7F36419B
	v_exp_f32_e32 v156, v156                                   // 00000000F000: 7F38419C
	v_exp_f32_e32 v157, v157                                   // 00000000F004: 7F3A419D
	v_exp_f32_e32 v158, v158                                   // 00000000F008: 7F3C419E
	v_exp_f32_e32 v159, v159                                   // 00000000F00C: 7F3E419F
	v_mul_f32_dpp v240, v252, v144 quad_perm:[0,0,0,0] row_mask:0xf bank_mask:0xf// 00000000F010: 0BE120FA FF0000FC
	v_mul_f32_dpp v241, v252, v145 quad_perm:[1,1,1,1] row_mask:0xf bank_mask:0xf// 00000000F018: 0BE322FA FF0055FC
	v_mul_f32_dpp v242, v252, v146 quad_perm:[2,2,2,2] row_mask:0xf bank_mask:0xf// 00000000F020: 0BE524FA FF00AAFC
	v_mul_f32_dpp v243, v252, v147 quad_perm:[3,3,3,3] row_mask:0xf bank_mask:0xf// 00000000F028: 0BE726FA FF00FFFC
	v_mul_f32_dpp v244, v253, v148 quad_perm:[0,0,0,0] row_mask:0xf bank_mask:0xf// 00000000F030: 0BE928FA FF0000FD
	v_mul_f32_dpp v245, v253, v149 quad_perm:[1,1,1,1] row_mask:0xf bank_mask:0xf// 00000000F038: 0BEB2AFA FF0055FD
	v_mul_f32_dpp v246, v253, v150 quad_perm:[2,2,2,2] row_mask:0xf bank_mask:0xf// 00000000F040: 0BED2CFA FF00AAFD
	v_mul_f32_dpp v247, v253, v151 quad_perm:[3,3,3,3] row_mask:0xf bank_mask:0xf// 00000000F048: 0BEF2EFA FF00FFFD
	v_mul_f32_dpp v248, v254, v152 quad_perm:[0,0,0,0] row_mask:0xf bank_mask:0xf// 00000000F050: 0BF130FA FF0000FE
	v_mul_f32_dpp v249, v254, v153 quad_perm:[1,1,1,1] row_mask:0xf bank_mask:0xf// 00000000F058: 0BF332FA FF0055FE
	v_mul_f32_dpp v250, v254, v154 quad_perm:[2,2,2,2] row_mask:0xf bank_mask:0xf// 00000000F060: 0BF534FA FF00AAFE
	v_mul_f32_dpp v251, v254, v155 quad_perm:[3,3,3,3] row_mask:0xf bank_mask:0xf// 00000000F068: 0BF736FA FF00FFFE
	v_mul_f32_dpp v252, v255, v156 quad_perm:[0,0,0,0] row_mask:0xf bank_mask:0xf// 00000000F070: 0BF938FA FF0000FF
	v_mul_f32_dpp v253, v255, v157 quad_perm:[1,1,1,1] row_mask:0xf bank_mask:0xf// 00000000F078: 0BFB3AFA FF0055FF
	v_mul_f32_dpp v254, v255, v158 quad_perm:[2,2,2,2] row_mask:0xf bank_mask:0xf// 00000000F080: 0BFD3CFA FF00AAFF
	v_mul_f32_dpp v255, v255, v159 quad_perm:[3,3,3,3] row_mask:0xf bank_mask:0xf// 00000000F088: 0BFF3EFA FF00FFFF
	v_mov_b32_e32 v62, 0x358637bd                              // 00000000F090: 7E7C02FF 358637BD
	v_max3_f32 v62, |v240|, |v241|, v62                        // 00000000F098: D1D3033E 04FBE3F0
	v_max3_f32 v62, |v242|, |v243|, v62                        // 00000000F0A0: D1D3033E 04FBE7F2
	v_max3_f32 v62, |v244|, |v245|, v62                        // 00000000F0A8: D1D3033E 04FBEBF4
	v_max3_f32 v62, |v246|, |v247|, v62                        // 00000000F0B0: D1D3033E 04FBEFF6
	v_max3_f32 v62, |v248|, |v249|, v62                        // 00000000F0B8: D1D3033E 04FBF3F8
	v_max3_f32 v62, |v250|, |v251|, v62                        // 00000000F0C0: D1D3033E 04FBF7FA
	v_max3_f32 v62, |v252|, |v253|, v62                        // 00000000F0C8: D1D3033E 04FBFBFC
	v_max3_f32 v62, |v254|, |v255|, v62                        // 00000000F0D0: D1D3033E 04FBFFFE
	ds_write_b32 v11, v62 offset:20992                         // 00000000F0D8: D81A5200 00003E0B
	v_sub_f32_e32 v64, v15, v18                                // 00000000F0E0: 0480250F
	v_cndmask_b32_e64 v64, v64, 0, s[40:41]                    // 00000000F0E4: D1000040 00A10140
	v_mov_b32_e32 v15, v18                                     // 00000000F0EC: 7E1E0312
	v_mul_f32_e32 v64, s64, v64                                // 00000000F0F0: 0A808040
	v_exp_f32_e32 v64, v64                                     // 00000000F0F4: 7E804140
	s_waitcnt lgkmcnt(0)                                       // 00000000F0F8: BF8CC07F
	s_barrier                                                  // 00000000F0FC: BF8A0000
	ds_read_b32 v80, v10 offset:20992                          // 00000000F100: D86C5200 5000000A
	ds_read_b32 v81, v10 offset:21056                          // 00000000F108: D86C5240 5100000A
	ds_read_b32 v82, v10 offset:21120                          // 00000000F110: D86C5280 5200000A
	ds_read_b32 v83, v10 offset:21184                          // 00000000F118: D86C52C0 5300000A
	ds_read_b32 v84, v10 offset:21248                          // 00000000F120: D86C5300 5400000A
	ds_read_b32 v85, v10 offset:21312                          // 00000000F128: D86C5340 5500000A
	ds_read_b32 v86, v10 offset:21376                          // 00000000F130: D86C5380 5600000A
	ds_read_b32 v87, v10 offset:21440                          // 00000000F138: D86C53C0 5700000A
	ds_read_b32 v88, v10 offset:21504                          // 00000000F140: D86C5400 5800000A
	ds_read_b32 v89, v10 offset:21568                          // 00000000F148: D86C5440 5900000A
	ds_read_b32 v90, v10 offset:21632                          // 00000000F150: D86C5480 5A00000A
	ds_read_b32 v91, v10 offset:21696                          // 00000000F158: D86C54C0 5B00000A
	ds_read_b32 v92, v10 offset:21760                          // 00000000F160: D86C5500 5C00000A
	ds_read_b32 v93, v10 offset:21824                          // 00000000F168: D86C5540 5D00000A
	ds_read_b32 v94, v10 offset:21888                          // 00000000F170: D86C5580 5E00000A
	ds_read_b32 v95, v10 offset:21952                          // 00000000F178: D86C55C0 5F00000A
	v_mul_f32_e32 v48, v64, v48                                // 00000000F180: 0A606140
	v_mov_b32_e32 v18, v144                                    // 00000000F184: 7E240390
	v_add_f32_e32 v18, v145, v18                               // 00000000F188: 02242591
	v_add_f32_e32 v18, v146, v18                               // 00000000F18C: 02242592
	v_add_f32_e32 v18, v147, v18                               // 00000000F190: 02242593
	v_add_f32_e32 v18, v148, v18                               // 00000000F194: 02242594
	v_add_f32_e32 v18, v149, v18                               // 00000000F198: 02242595
	v_add_f32_e32 v18, v150, v18                               // 00000000F19C: 02242596
	v_add_f32_e32 v18, v151, v18                               // 00000000F1A0: 02242597
	v_add_f32_e32 v18, v152, v18                               // 00000000F1A4: 02242598
	v_add_f32_e32 v18, v153, v18                               // 00000000F1A8: 02242599
	v_add_f32_e32 v18, v154, v18                               // 00000000F1AC: 0224259A
	v_add_f32_e32 v18, v155, v18                               // 00000000F1B0: 0224259B
	v_add_f32_e32 v18, v156, v18                               // 00000000F1B4: 0224259C
	v_add_f32_e32 v18, v157, v18                               // 00000000F1B8: 0224259D
	v_add_f32_e32 v18, v158, v18                               // 00000000F1BC: 0224259E
	v_add_f32_e32 v18, v159, v18                               // 00000000F1C0: 0224259F
	v_add_f32_e32 v48, v18, v48                                // 00000000F1C4: 02606112
	s_waitcnt lgkmcnt(0)                                       // 00000000F1C8: BF8CC07F
	v_max3_f32 v62, |v80|, |v81|, v62                          // 00000000F1CC: D1D3033E 04FAA350
	v_max3_f32 v62, |v82|, |v83|, v62                          // 00000000F1D4: D1D3033E 04FAA752
	v_max3_f32 v62, |v84|, |v85|, v62                          // 00000000F1DC: D1D3033E 04FAAB54
	v_max3_f32 v62, |v86|, |v87|, v62                          // 00000000F1E4: D1D3033E 04FAAF56
	v_max3_f32 v62, |v88|, |v89|, v62                          // 00000000F1EC: D1D3033E 04FAB358
	v_max3_f32 v62, |v90|, |v91|, v62                          // 00000000F1F4: D1D3033E 04FAB75A
	v_max3_f32 v62, |v92|, |v93|, v62                          // 00000000F1FC: D1D3033E 04FABB5C
	v_max3_f32 v62, |v94|, |v95|, v62                          // 00000000F204: D1D3033E 04FABF5E
	s_nop 2                                                    // 00000000F20C: BF800002
	v_rcp_f32_e32 v62, v62                                     // 00000000F210: 7E7C453E
	s_nop 1                                                    // 00000000F214: BF800001
	v_mul_f32_e32 v62, 0x42fe0000, v62                         // 00000000F218: 0A7C7CFF 42FE0000
	v_mul_f32_e32 v144, v62, v240                              // 00000000F220: 0B21E13E
	v_mul_f32_e32 v145, v62, v241                              // 00000000F224: 0B23E33E
	v_mul_f32_e32 v146, v62, v242                              // 00000000F228: 0B25E53E
	v_mul_f32_e32 v147, v62, v243                              // 00000000F22C: 0B27E73E
	v_mul_f32_e32 v148, v62, v244                              // 00000000F230: 0B29E93E
	v_mul_f32_e32 v149, v62, v245                              // 00000000F234: 0B2BEB3E
	v_mul_f32_e32 v150, v62, v246                              // 00000000F238: 0B2DED3E
	v_mul_f32_e32 v151, v62, v247                              // 00000000F23C: 0B2FEF3E
	v_mul_f32_e32 v152, v62, v248                              // 00000000F240: 0B31F13E
	v_mul_f32_e32 v153, v62, v249                              // 00000000F244: 0B33F33E
	v_mul_f32_e32 v154, v62, v250                              // 00000000F248: 0B35F53E
	v_mul_f32_e32 v155, v62, v251                              // 00000000F24C: 0B37F73E
	v_mul_f32_e32 v156, v62, v252                              // 00000000F250: 0B39F93E
	v_mul_f32_e32 v157, v62, v253                              // 00000000F254: 0B3BFB3E
	v_mul_f32_e32 v158, v62, v254                              // 00000000F258: 0B3DFD3E
	v_mul_f32_e32 v159, v62, v255                              // 00000000F25C: 0B3FFF3E
	v_cvt_i32_f32_e32 v144, v144                               // 00000000F260: 7F201190
	v_cvt_i32_f32_e32 v145, v145                               // 00000000F264: 7F221191
	v_cvt_i32_f32_e32 v146, v146                               // 00000000F268: 7F241192
	v_cvt_i32_f32_e32 v147, v147                               // 00000000F26C: 7F261193
	v_cvt_i32_f32_e32 v148, v148                               // 00000000F270: 7F281194
	v_cvt_i32_f32_e32 v149, v149                               // 00000000F274: 7F2A1195
	v_cvt_i32_f32_e32 v150, v150                               // 00000000F278: 7F2C1196
	v_cvt_i32_f32_e32 v151, v151                               // 00000000F27C: 7F2E1197
	v_cvt_i32_f32_e32 v152, v152                               // 00000000F280: 7F301198
	v_cvt_i32_f32_e32 v153, v153                               // 00000000F284: 7F321199
	v_cvt_i32_f32_e32 v154, v154                               // 00000000F288: 7F34119A
	v_cvt_i32_f32_e32 v155, v155                               // 00000000F28C: 7F36119B
	v_cvt_i32_f32_e32 v156, v156                               // 00000000F290: 7F38119C
	v_cvt_i32_f32_e32 v157, v157                               // 00000000F294: 7F3A119D
	v_cvt_i32_f32_e32 v158, v158                               // 00000000F298: 7F3C119E
	v_cvt_i32_f32_e32 v159, v159                               // 00000000F29C: 7F3E119F
	v_perm_b32 v144, v145, v144, s53                           // 00000000F2A0: D1ED0090 00D72191
	v_perm_b32 v144, v146, v144, s54                           // 00000000F2A8: D1ED0090 00DB2192
	v_perm_b32 v144, v147, v144, s55                           // 00000000F2B0: D1ED0090 00DF2193
	v_perm_b32 v145, v149, v148, s53                           // 00000000F2B8: D1ED0091 00D72995
	v_perm_b32 v145, v150, v145, s54                           // 00000000F2C0: D1ED0091 00DB2396
	v_perm_b32 v145, v151, v145, s55                           // 00000000F2C8: D1ED0091 00DF2397
	v_perm_b32 v146, v153, v152, s53                           // 00000000F2D0: D1ED0092 00D73199
	v_perm_b32 v146, v154, v146, s54                           // 00000000F2D8: D1ED0092 00DB259A
	v_perm_b32 v146, v155, v146, s55                           // 00000000F2E0: D1ED0092 00DF259B
	v_perm_b32 v147, v157, v156, s53                           // 00000000F2E8: D1ED0093 00D7399D
	v_perm_b32 v147, v158, v147, s54                           // 00000000F2F0: D1ED0093 00DB279E
	v_perm_b32 v147, v159, v147, s55                           // 00000000F2F8: D1ED0093 00DF279F
	ds_write_b32 v13, v144 offset:29184                        // 00000000F300: D81A7200 0000900D
	ds_write_b32 v13, v145 offset:30208                        // 00000000F308: D81A7600 0000910D
	ds_write_b32 v13, v146 offset:31232                        // 00000000F310: D81A7A00 0000920D
	ds_write_b32 v13, v147 offset:32256                        // 00000000F318: D81A7E00 0000930D
	v_add_f32_e32 v232, v232, v200                             // 00000000F320: 03D191E8
	v_add_f32_e32 v233, v233, v201                             // 00000000F324: 03D393E9
	v_add_f32_e32 v234, v234, v202                             // 00000000F328: 03D595EA
	v_add_f32_e32 v235, v235, v203                             // 00000000F32C: 03D797EB
	v_add_f32_e32 v236, v236, v204                             // 00000000F330: 03D999EC
	v_add_f32_e32 v237, v237, v205                             // 00000000F334: 03DB9BED
	v_add_f32_e32 v238, v238, v206                             // 00000000F338: 03DD9DEE
	v_add_f32_e32 v239, v239, v207                             // 00000000F33C: 03DF9FEF
	v_rcp_f32_e32 v59, v62                                     // 00000000F340: 7E76453E
	s_waitcnt lgkmcnt(0)                                       // 00000000F344: BF8CC07F
	s_barrier                                                  // 00000000F348: BF8A0000
	ds_read_b64 v[144:145], v12 offset:29184                   // 00000000F34C: D8EC7200 9000000C
	ds_read_b64 v[146:147], v12 offset:29312                   // 00000000F354: D8EC7280 9200000C
	ds_read_b64 v[148:149], v12 offset:30208                   // 00000000F35C: D8EC7600 9400000C
	ds_read_b64 v[150:151], v12 offset:30336                   // 00000000F364: D8EC7680 9600000C
	ds_read_b64 v[152:153], v12 offset:31232                   // 00000000F36C: D8EC7A00 9800000C
	ds_read_b64 v[154:155], v12 offset:31360                   // 00000000F374: D8EC7A80 9A00000C
	ds_read_b64 v[156:157], v12 offset:32256                   // 00000000F37C: D8EC7E00 9C00000C
	ds_read_b64 v[158:159], v12 offset:32384                   // 00000000F384: D8EC7E80 9E00000C
	s_waitcnt vmcnt(15)                                        // 00000000F38C: BF8C0F7F
	v_mfma_i32_16x16x32_i8 v[192:195], a[96:97], v[128:129], 0 // 00000000F390: D3D700C0 0A030160
	buffer_load_dwordx4 a[80:83], v33, s[20:23], 0 offen offset:1024// 00000000F398: E05C1400 80855021
	v_mfma_i32_16x16x32_i8 v[192:195], a[98:99], v[130:131], v[192:195]// 00000000F3A0: D3D700C0 0F030562
	v_mfma_i32_16x16x32_i8 v[192:195], a[100:101], v[132:133], v[192:195]// 00000000F3A8: D3D700C0 0F030964
	v_mfma_i32_16x16x32_i8 v[192:195], a[102:103], v[134:135], v[192:195]// 00000000F3B0: D3D700C0 0F030D66
	v_mfma_i32_16x16x32_i8 v[192:195], a[104:105], v[136:137], v[192:195]// 00000000F3B8: D3D700C0 0F031168
	buffer_load_dwordx4 a[84:87], v34, s[20:23], 0 offen offset:1024// 00000000F3C0: E05C1400 80855422
	v_mfma_i32_16x16x32_i8 v[192:195], a[106:107], v[138:139], v[192:195]// 00000000F3C8: D3D700C0 0F03156A
	v_mfma_i32_16x16x32_i8 v[192:195], a[108:109], v[140:141], v[192:195]// 00000000F3D0: D3D700C0 0F03196C
	v_mfma_i32_16x16x32_i8 v[192:195], a[110:111], v[142:143], v[192:195]// 00000000F3D8: D3D700C0 0F031D6E
	v_mfma_i32_16x16x32_i8 v[196:199], a[112:113], v[128:129], 0// 00000000F3E0: D3D700C4 0A030170
	buffer_load_dwordx4 a[88:91], v35, s[20:23], 0 offen offset:1024// 00000000F3E8: E05C1400 80855823
	v_mfma_i32_16x16x32_i8 v[196:199], a[114:115], v[130:131], v[196:199]// 00000000F3F0: D3D700C4 0F130572
	v_mfma_i32_16x16x32_i8 v[196:199], a[116:117], v[132:133], v[196:199]// 00000000F3F8: D3D700C4 0F130974
	v_mfma_i32_16x16x32_i8 v[196:199], a[118:119], v[134:135], v[196:199]// 00000000F400: D3D700C4 0F130D76
	v_mfma_i32_16x16x32_i8 v[196:199], a[120:121], v[136:137], v[196:199]// 00000000F408: D3D700C4 0F131178
	buffer_load_dwordx4 a[92:95], v36, s[20:23], 0 offen offset:1024// 00000000F410: E05C1400 80855C24
	v_mfma_i32_16x16x32_i8 v[196:199], a[122:123], v[138:139], v[196:199]// 00000000F418: D3D700C4 0F13157A
	v_mfma_i32_16x16x32_i8 v[196:199], a[124:125], v[140:141], v[196:199]// 00000000F420: D3D700C4 0F13197C
	s_lshr_b32 s57, s70, 4                                     // 00000000F428: 8F398446
	s_add_u32 s57, 48, s57                                     // 00000000F42C: 803939B0
	v_mfma_i32_16x16x32_i8 v[196:199], a[126:127], v[142:143], v[196:199]// 00000000F430: D3D700C4 0F131D7E
	s_cmp_ge_u32 s57, s73                                      // 00000000F438: BF094939
	s_cselect_b32 s56, 0, s56                                  // 00000000F43C: 85383880
	v_mfma_i32_16x16x32_i8 v[200:203], a[96:97], v[144:145], 0 // 00000000F440: D3D700C8 0A032160
	v_mfma_i32_16x16x32_i8 v[200:203], a[98:99], v[146:147], v[200:203]// 00000000F448: D3D700C8 0F232562
	v_mfma_i32_16x16x32_i8 v[200:203], a[100:101], v[148:149], v[200:203]// 00000000F450: D3D700C8 0F232964
	v_mfma_i32_16x16x32_i8 v[200:203], a[102:103], v[150:151], v[200:203]// 00000000F458: D3D700C8 0F232D66
	v_mfma_i32_16x16x32_i8 v[200:203], a[104:105], v[152:153], v[200:203]// 00000000F460: D3D700C8 0F233168
	v_mfma_i32_16x16x32_i8 v[200:203], a[106:107], v[154:155], v[200:203]// 00000000F468: D3D700C8 0F23356A
	v_mfma_i32_16x16x32_i8 v[200:203], a[108:109], v[156:157], v[200:203]// 00000000F470: D3D700C8 0F23396C
	v_mfma_i32_16x16x32_i8 v[200:203], a[110:111], v[158:159], v[200:203]// 00000000F478: D3D700C8 0F233D6E
	v_mfma_i32_16x16x32_i8 v[204:207], a[112:113], v[144:145], 0// 00000000F480: D3D700CC 0A032170
	v_mfma_i32_16x16x32_i8 v[204:207], a[114:115], v[146:147], v[204:207]// 00000000F488: D3D700CC 0F332572
	v_mfma_i32_16x16x32_i8 v[204:207], a[116:117], v[148:149], v[204:207]// 00000000F490: D3D700CC 0F332974
	v_mfma_i32_16x16x32_i8 v[204:207], a[118:119], v[150:151], v[204:207]// 00000000F498: D3D700CC 0F332D76
	v_mfma_i32_16x16x32_i8 v[204:207], a[120:121], v[152:153], v[204:207]// 00000000F4A0: D3D700CC 0F333178
	v_mfma_i32_16x16x32_i8 v[204:207], a[122:123], v[154:155], v[204:207]// 00000000F4A8: D3D700CC 0F33357A
	v_mfma_i32_16x16x32_i8 v[204:207], a[124:125], v[156:157], v[204:207]// 00000000F4B0: D3D700CC 0F33397C
	v_mfma_i32_16x16x32_i8 v[204:207], a[126:127], v[158:159], v[204:207]// 00000000F4B8: D3D700CC 0F333D7E
	v_add_u32_e32 v1, s56, v1                                  // 00000000F4C0: 68020238
	s_addk_i32 s70, 0x100                                      // 00000000F4C4: B7460100
	s_cmp_lt_i32 s70, s71                                      // 00000000F4C8: BF044746
	s_cbranch_scc0 label_2B75                                  // 00000000F4CC: BF84F6C1
	s_branch label_2B78                                        // 00000000F4D0: BF82F6C3

000000000000f4d4 <label_34B5>:
	s_lshr_b32 s60, s71, 4                                     // 00000000F4D4: 8F3C8447
	s_cmp_eq_i32 s60, s73                                      // 00000000F4D8: BF00493C
	s_cbranch_scc1 label_3F30                                  // 00000000F4DC: BF850A78
	s_lshr_b32 s60, s71, 8                                     // 00000000F4E0: 8F3C8847
	s_and_b32 s60, s60, 1                                      // 00000000F4E4: 863C813C
	s_cmp_eq_i32 s60, 1                                        // 00000000F4E8: BF00813C
	s_cbranch_scc1 label_39F6                                  // 00000000F4EC: BF85053A
	s_waitcnt vmcnt(8) lgkmcnt(0)                              // 00000000F4F0: BF8C0078
	s_barrier                                                  // 00000000F4F4: BF8A0000
	v_mfma_i32_16x16x32_i8 v[128:131], a[0:1], v[96:97], 0     // 00000000F4F8: D3D70080 0A02C100
	v_mfma_i32_16x16x32_i8 v[128:131], a[2:3], v[98:99], v[128:131]// 00000000F500: D3D70080 0E02C502
	v_mfma_i32_16x16x32_i8 v[128:131], a[4:5], v[100:101], v[128:131]// 00000000F508: D3D70080 0E02C904
	v_mfma_i32_16x16x32_i8 v[128:131], a[6:7], v[102:103], v[128:131]// 00000000F510: D3D70080 0E02CD06
	v_mfma_i32_16x16x32_i8 v[132:135], a[8:9], v[96:97], 0     // 00000000F518: D3D70084 0A02C108
	v_mfma_i32_16x16x32_i8 v[132:135], a[10:11], v[98:99], v[132:135]// 00000000F520: D3D70084 0E12C50A
	v_mfma_i32_16x16x32_i8 v[132:135], a[12:13], v[100:101], v[132:135]// 00000000F528: D3D70084 0E12C90C
	v_mfma_i32_16x16x32_i8 v[132:135], a[14:15], v[102:103], v[132:135]// 00000000F530: D3D70084 0E12CD0E
	v_mfma_i32_16x16x32_i8 v[136:139], a[16:17], v[96:97], 0   // 00000000F538: D3D70088 0A02C110
	v_mfma_i32_16x16x32_i8 v[136:139], a[18:19], v[98:99], v[136:139]// 00000000F540: D3D70088 0E22C512
	v_mfma_i32_16x16x32_i8 v[136:139], a[20:21], v[100:101], v[136:139]// 00000000F548: D3D70088 0E22C914
	v_mfma_i32_16x16x32_i8 v[136:139], a[22:23], v[102:103], v[136:139]// 00000000F550: D3D70088 0E22CD16
	v_mfma_i32_16x16x32_i8 v[140:143], a[24:25], v[96:97], 0   // 00000000F558: D3D7008C 0A02C118
	v_mfma_i32_16x16x32_i8 v[140:143], a[26:27], v[98:99], v[140:143]// 00000000F560: D3D7008C 0E32C51A
	v_mfma_i32_16x16x32_i8 v[140:143], a[28:29], v[100:101], v[140:143]// 00000000F568: D3D7008C 0E32C91C
	v_mfma_i32_16x16x32_i8 v[140:143], a[30:31], v[102:103], v[140:143]// 00000000F570: D3D7008C 0E32CD1E
	v_mfma_i32_16x16x32_i8 v[144:147], a[0:1], v[104:105], 0   // 00000000F578: D3D70090 0A02D100
	v_mfma_i32_16x16x32_i8 v[144:147], a[2:3], v[106:107], v[144:147]// 00000000F580: D3D70090 0E42D502
	v_mfma_i32_16x16x32_i8 v[144:147], a[4:5], v[108:109], v[144:147]// 00000000F588: D3D70090 0E42D904
	v_mfma_i32_16x16x32_i8 v[144:147], a[6:7], v[110:111], v[144:147]// 00000000F590: D3D70090 0E42DD06
	v_mfma_i32_16x16x32_i8 v[148:151], a[8:9], v[104:105], 0   // 00000000F598: D3D70094 0A02D108
	v_mfma_i32_16x16x32_i8 v[148:151], a[10:11], v[106:107], v[148:151]// 00000000F5A0: D3D70094 0E52D50A
	v_mfma_i32_16x16x32_i8 v[148:151], a[12:13], v[108:109], v[148:151]// 00000000F5A8: D3D70094 0E52D90C
	v_mfma_i32_16x16x32_i8 v[148:151], a[14:15], v[110:111], v[148:151]// 00000000F5B0: D3D70094 0E52DD0E
	v_mfma_i32_16x16x32_i8 v[152:155], a[16:17], v[104:105], 0 // 00000000F5B8: D3D70098 0A02D110
	v_mfma_i32_16x16x32_i8 v[152:155], a[18:19], v[106:107], v[152:155]// 00000000F5C0: D3D70098 0E62D512
	v_mfma_i32_16x16x32_i8 v[152:155], a[20:21], v[108:109], v[152:155]// 00000000F5C8: D3D70098 0E62D914
	v_mfma_i32_16x16x32_i8 v[152:155], a[22:23], v[110:111], v[152:155]// 00000000F5D0: D3D70098 0E62DD16
	v_mfma_i32_16x16x32_i8 v[156:159], a[24:25], v[104:105], 0 // 00000000F5D8: D3D7009C 0A02D118
	v_mfma_i32_16x16x32_i8 v[156:159], a[26:27], v[106:107], v[156:159]// 00000000F5E0: D3D7009C 0E72D51A
	v_mfma_i32_16x16x32_i8 v[156:159], a[28:29], v[108:109], v[156:159]// 00000000F5E8: D3D7009C 0E72D91C
	v_mfma_i32_16x16x32_i8 v[156:159], a[30:31], v[110:111], v[156:159]// 00000000F5F0: D3D7009C 0E72DD1E
	v_mov_b32_dpp v41, v52 row_shr:4 row_mask:0xf bank_mask:0xf// 00000000F5F8: 7E5202FA FF011434
	v_mov_b32_dpp v42, v52 row_shl:4 row_mask:0xf bank_mask:0xf// 00000000F600: 7E5402FA FF010434
	v_cndmask_b32_e64 v248, v52, v41, s[44:45]                 // 00000000F608: D10000F8 00B25334
	v_cndmask_b32_e64 v249, v42, v52, s[44:45]                 // 00000000F610: D10000F9 00B2692A
	v_mov_b32_dpp v41, v248 row_shr:8 row_mask:0xf bank_mask:0xf// 00000000F618: 7E5202FA FF0118F8
	v_mov_b32_dpp v42, v248 row_shl:8 row_mask:0xf bank_mask:0xf// 00000000F620: 7E5402FA FF0108F8
	v_mov_b32_dpp v43, v249 row_shr:8 row_mask:0xf bank_mask:0xf// 00000000F628: 7E5602FA FF0118F9
	v_mov_b32_dpp v44, v249 row_shl:8 row_mask:0xf bank_mask:0xf// 00000000F630: 7E5802FA FF0108F9
	v_mov_b32_e32 v45, v248                                    // 00000000F638: 7E5A03F8
	v_mov_b32_e32 v46, v249                                    // 00000000F63C: 7E5C03F9
	v_cndmask_b32_e64 v248, v45, v41, s[42:43]                 // 00000000F640: D10000F8 00AA532D
	v_cndmask_b32_e64 v250, v45, v42, s[78:79]                 // 00000000F648: D10000FA 013A552D
	v_cndmask_b32_e64 v249, v46, v43, s[42:43]                 // 00000000F650: D10000F9 00AA572E
	v_cndmask_b32_e64 v251, v46, v44, s[78:79]                 // 00000000F658: D10000FB 013A592E
	v_mov_b32_dpp v41, v72 row_shr:4 row_mask:0xf bank_mask:0xf// 00000000F660: 7E5202FA FF011448
	v_mov_b32_dpp v42, v72 row_shl:4 row_mask:0xf bank_mask:0xf// 00000000F668: 7E5402FA FF010448
	v_cndmask_b32_e64 v252, v72, v41, s[44:45]                 // 00000000F670: D10000FC 00B25348
	v_cndmask_b32_e64 v253, v42, v72, s[44:45]                 // 00000000F678: D10000FD 00B2912A
	v_mov_b32_dpp v41, v252 row_shr:8 row_mask:0xf bank_mask:0xf// 00000000F680: 7E5202FA FF0118FC
	v_mov_b32_dpp v42, v252 row_shl:8 row_mask:0xf bank_mask:0xf// 00000000F688: 7E5402FA FF0108FC
	v_mov_b32_dpp v43, v253 row_shr:8 row_mask:0xf bank_mask:0xf// 00000000F690: 7E5602FA FF0118FD
	v_mov_b32_dpp v44, v253 row_shl:8 row_mask:0xf bank_mask:0xf// 00000000F698: 7E5802FA FF0108FD
	v_mov_b32_e32 v45, v252                                    // 00000000F6A0: 7E5A03FC
	v_mov_b32_e32 v46, v253                                    // 00000000F6A4: 7E5C03FD
	v_cndmask_b32_e64 v252, v45, v41, s[42:43]                 // 00000000F6A8: D10000FC 00AA532D
	v_cndmask_b32_e64 v254, v45, v42, s[78:79]                 // 00000000F6B0: D10000FE 013A552D
	v_cndmask_b32_e64 v253, v46, v43, s[42:43]                 // 00000000F6B8: D10000FD 00AA572E
	v_cndmask_b32_e64 v255, v46, v44, s[78:79]                 // 00000000F6C0: D10000FF 013A592E
	v_cvt_f32_i32_e32 v128, v128                               // 00000000F6C8: 7F000B80
	v_cvt_f32_i32_e32 v129, v129                               // 00000000F6CC: 7F020B81
	v_cvt_f32_i32_e32 v130, v130                               // 00000000F6D0: 7F040B82
	v_cvt_f32_i32_e32 v131, v131                               // 00000000F6D4: 7F060B83
	v_cvt_f32_i32_e32 v132, v132                               // 00000000F6D8: 7F080B84
	v_cvt_f32_i32_e32 v133, v133                               // 00000000F6DC: 7F0A0B85
	v_cvt_f32_i32_e32 v134, v134                               // 00000000F6E0: 7F0C0B86
	v_cvt_f32_i32_e32 v135, v135                               // 00000000F6E4: 7F0E0B87
	v_cvt_f32_i32_e32 v136, v136                               // 00000000F6E8: 7F100B88
	v_cvt_f32_i32_e32 v137, v137                               // 00000000F6EC: 7F120B89
	v_cvt_f32_i32_e32 v138, v138                               // 00000000F6F0: 7F140B8A
	v_cvt_f32_i32_e32 v139, v139                               // 00000000F6F4: 7F160B8B
	v_cvt_f32_i32_e32 v140, v140                               // 00000000F6F8: 7F180B8C
	v_cvt_f32_i32_e32 v141, v141                               // 00000000F6FC: 7F1A0B8D
	v_cvt_f32_i32_e32 v142, v142                               // 00000000F700: 7F1C0B8E
	v_cvt_f32_i32_e32 v143, v143                               // 00000000F704: 7F1E0B8F
	v_mul_f32_e32 v128, v54, v128                              // 00000000F708: 0B010136
	v_mul_f32_e32 v129, v54, v129                              // 00000000F70C: 0B030336
	v_mul_f32_e32 v130, v54, v130                              // 00000000F710: 0B050536
	v_mul_f32_e32 v131, v54, v131                              // 00000000F714: 0B070736
	v_mul_f32_e32 v132, v54, v132                              // 00000000F718: 0B090936
	v_mul_f32_e32 v133, v54, v133                              // 00000000F71C: 0B0B0B36
	v_mul_f32_e32 v134, v54, v134                              // 00000000F720: 0B0D0D36
	v_mul_f32_e32 v135, v54, v135                              // 00000000F724: 0B0F0F36
	v_mul_f32_e32 v136, v54, v136                              // 00000000F728: 0B111136
	v_mul_f32_e32 v137, v54, v137                              // 00000000F72C: 0B131336
	v_mul_f32_e32 v138, v54, v138                              // 00000000F730: 0B151536
	v_mul_f32_e32 v139, v54, v139                              // 00000000F734: 0B171736
	v_mul_f32_e32 v140, v54, v140                              // 00000000F738: 0B191936
	v_mul_f32_e32 v141, v54, v141                              // 00000000F73C: 0B1B1B36
	v_mul_f32_e32 v142, v54, v142                              // 00000000F740: 0B1D1D36
	v_mul_f32_e32 v143, v54, v143                              // 00000000F744: 0B1F1F36
	v_mul_f32_dpp v128, v248, v128 quad_perm:[0,0,0,0] row_mask:0xf bank_mask:0xf// 00000000F748: 0B0100FA FF0000F8
	v_mul_f32_dpp v129, v248, v129 quad_perm:[1,1,1,1] row_mask:0xf bank_mask:0xf// 00000000F750: 0B0302FA FF0055F8
	v_mul_f32_dpp v130, v248, v130 quad_perm:[2,2,2,2] row_mask:0xf bank_mask:0xf// 00000000F758: 0B0504FA FF00AAF8
	v_mul_f32_dpp v131, v248, v131 quad_perm:[3,3,3,3] row_mask:0xf bank_mask:0xf// 00000000F760: 0B0706FA FF00FFF8
	v_mul_f32_dpp v132, v249, v132 quad_perm:[0,0,0,0] row_mask:0xf bank_mask:0xf// 00000000F768: 0B0908FA FF0000F9
	v_mul_f32_dpp v133, v249, v133 quad_perm:[1,1,1,1] row_mask:0xf bank_mask:0xf// 00000000F770: 0B0B0AFA FF0055F9
	v_mul_f32_dpp v134, v249, v134 quad_perm:[2,2,2,2] row_mask:0xf bank_mask:0xf// 00000000F778: 0B0D0CFA FF00AAF9
	v_mul_f32_dpp v135, v249, v135 quad_perm:[3,3,3,3] row_mask:0xf bank_mask:0xf// 00000000F780: 0B0F0EFA FF00FFF9
	v_mul_f32_dpp v136, v250, v136 quad_perm:[0,0,0,0] row_mask:0xf bank_mask:0xf// 00000000F788: 0B1110FA FF0000FA
	v_mul_f32_dpp v137, v250, v137 quad_perm:[1,1,1,1] row_mask:0xf bank_mask:0xf// 00000000F790: 0B1312FA FF0055FA
	v_mul_f32_dpp v138, v250, v138 quad_perm:[2,2,2,2] row_mask:0xf bank_mask:0xf// 00000000F798: 0B1514FA FF00AAFA
	v_mul_f32_dpp v139, v250, v139 quad_perm:[3,3,3,3] row_mask:0xf bank_mask:0xf// 00000000F7A0: 0B1716FA FF00FFFA
	v_mul_f32_dpp v140, v251, v140 quad_perm:[0,0,0,0] row_mask:0xf bank_mask:0xf// 00000000F7A8: 0B1918FA FF0000FB
	v_mul_f32_dpp v141, v251, v141 quad_perm:[1,1,1,1] row_mask:0xf bank_mask:0xf// 00000000F7B0: 0B1B1AFA FF0055FB
	v_mul_f32_dpp v142, v251, v142 quad_perm:[2,2,2,2] row_mask:0xf bank_mask:0xf// 00000000F7B8: 0B1D1CFA FF00AAFB
	v_mul_f32_dpp v143, v251, v143 quad_perm:[3,3,3,3] row_mask:0xf bank_mask:0xf// 00000000F7C0: 0B1F1EFA FF00FFFB
	s_and_b32 s60, s72, 0xff                                   // 00000000F7C8: 863CFF48 000000FF
	v_mov_b32_e32 v42, s60                                     // 00000000F7D0: 7E54023C
	v_lshrrev_b32_e32 v240, 4, v0                              // 00000000F7D4: 21E00084
	v_mul_i32_i24_e32 v240, 4, v240                            // 00000000F7D8: 0DE1E084
	s_mul_i32 s60, s7, 16                                      // 00000000F7DC: 923C9007
	v_add_u32_e32 v240, s60, v240                              // 00000000F7E0: 69E1E03C
	v_add_u32_e32 v241, 1, v240                                // 00000000F7E4: 69E3E081
	v_add_u32_e32 v242, 2, v240                                // 00000000F7E8: 69E5E082
	v_add_u32_e32 v243, 3, v240                                // 00000000F7EC: 69E7E083
	v_mov_b32_e32 v41, 0xff800000                              // 00000000F7F0: 7E5202FF FF800000
	v_cmp_lt_u32_e64 s[40:41], v240, v42                       // 00000000F7F8: D0C90028 000255F0
	v_add_u32_e32 v240, 64, v240                               // 00000000F800: 69E1E0C0
	s_nop 0                                                    // 00000000F804: BF800000
	v_cndmask_b32_e64 v128, v41, v128, s[40:41]                // 00000000F808: D1000080 00A30129
	v_cmp_lt_u32_e64 s[40:41], v241, v42                       // 00000000F810: D0C90028 000255F1
	v_add_u32_e32 v241, 64, v241                               // 00000000F818: 69E3E2C0
	s_nop 0                                                    // 00000000F81C: BF800000
	v_cndmask_b32_e64 v129, v41, v129, s[40:41]                // 00000000F820: D1000081 00A30329
	v_cmp_lt_u32_e64 s[40:41], v242, v42                       // 00000000F828: D0C90028 000255F2
	v_add_u32_e32 v242, 64, v242                               // 00000000F830: 69E5E4C0
	s_nop 0                                                    // 00000000F834: BF800000
	v_cndmask_b32_e64 v130, v41, v130, s[40:41]                // 00000000F838: D1000082 00A30529
	v_cmp_lt_u32_e64 s[40:41], v243, v42                       // 00000000F840: D0C90028 000255F3
	v_add_u32_e32 v243, 64, v243                               // 00000000F848: 69E7E6C0
	s_nop 0                                                    // 00000000F84C: BF800000
	v_cndmask_b32_e64 v131, v41, v131, s[40:41]                // 00000000F850: D1000083 00A30729
	v_cmp_lt_u32_e64 s[40:41], v240, v42                       // 00000000F858: D0C90028 000255F0
	v_add_u32_e32 v240, 64, v240                               // 00000000F860: 69E1E0C0
	s_nop 0                                                    // 00000000F864: BF800000
	v_cndmask_b32_e64 v132, v41, v132, s[40:41]                // 00000000F868: D1000084 00A30929
	v_cmp_lt_u32_e64 s[40:41], v241, v42                       // 00000000F870: D0C90028 000255F1
	v_add_u32_e32 v241, 64, v241                               // 00000000F878: 69E3E2C0
	s_nop 0                                                    // 00000000F87C: BF800000
	v_cndmask_b32_e64 v133, v41, v133, s[40:41]                // 00000000F880: D1000085 00A30B29
	v_cmp_lt_u32_e64 s[40:41], v242, v42                       // 00000000F888: D0C90028 000255F2
	v_add_u32_e32 v242, 64, v242                               // 00000000F890: 69E5E4C0
	s_nop 0                                                    // 00000000F894: BF800000
	v_cndmask_b32_e64 v134, v41, v134, s[40:41]                // 00000000F898: D1000086 00A30D29
	v_cmp_lt_u32_e64 s[40:41], v243, v42                       // 00000000F8A0: D0C90028 000255F3
	v_add_u32_e32 v243, 64, v243                               // 00000000F8A8: 69E7E6C0
	s_nop 0                                                    // 00000000F8AC: BF800000
	v_cndmask_b32_e64 v135, v41, v135, s[40:41]                // 00000000F8B0: D1000087 00A30F29
	v_cmp_lt_u32_e64 s[40:41], v240, v42                       // 00000000F8B8: D0C90028 000255F0
	v_add_u32_e32 v240, 64, v240                               // 00000000F8C0: 69E1E0C0
	s_nop 0                                                    // 00000000F8C4: BF800000
	v_cndmask_b32_e64 v136, v41, v136, s[40:41]                // 00000000F8C8: D1000088 00A31129
	v_cmp_lt_u32_e64 s[40:41], v241, v42                       // 00000000F8D0: D0C90028 000255F1
	v_add_u32_e32 v241, 64, v241                               // 00000000F8D8: 69E3E2C0
	s_nop 0                                                    // 00000000F8DC: BF800000
	v_cndmask_b32_e64 v137, v41, v137, s[40:41]                // 00000000F8E0: D1000089 00A31329
	v_cmp_lt_u32_e64 s[40:41], v242, v42                       // 00000000F8E8: D0C90028 000255F2
	v_add_u32_e32 v242, 64, v242                               // 00000000F8F0: 69E5E4C0
	s_nop 0                                                    // 00000000F8F4: BF800000
	v_cndmask_b32_e64 v138, v41, v138, s[40:41]                // 00000000F8F8: D100008A 00A31529
	v_cmp_lt_u32_e64 s[40:41], v243, v42                       // 00000000F900: D0C90028 000255F3
	v_add_u32_e32 v243, 64, v243                               // 00000000F908: 69E7E6C0
	s_nop 0                                                    // 00000000F90C: BF800000
	v_cndmask_b32_e64 v139, v41, v139, s[40:41]                // 00000000F910: D100008B 00A31729
	v_cmp_lt_u32_e64 s[40:41], v240, v42                       // 00000000F918: D0C90028 000255F0
	v_add_u32_e32 v240, 64, v240                               // 00000000F920: 69E1E0C0
	s_nop 0                                                    // 00000000F924: BF800000
	v_cndmask_b32_e64 v140, v41, v140, s[40:41]                // 00000000F928: D100008C 00A31929
	v_cmp_lt_u32_e64 s[40:41], v241, v42                       // 00000000F930: D0C90028 000255F1
	v_add_u32_e32 v241, 64, v241                               // 00000000F938: 69E3E2C0
	s_nop 0                                                    // 00000000F93C: BF800000
	v_cndmask_b32_e64 v141, v41, v141, s[40:41]                // 00000000F940: D100008D 00A31B29
	v_cmp_lt_u32_e64 s[40:41], v242, v42                       // 00000000F948: D0C90028 000255F2
	v_add_u32_e32 v242, 64, v242                               // 00000000F950: 69E5E4C0
	s_nop 0                                                    // 00000000F954: BF800000
	v_cndmask_b32_e64 v142, v41, v142, s[40:41]                // 00000000F958: D100008E 00A31D29
	v_cmp_lt_u32_e64 s[40:41], v243, v42                       // 00000000F960: D0C90028 000255F3
	v_add_u32_e32 v243, 64, v243                               // 00000000F968: 69E7E6C0
	s_nop 0                                                    // 00000000F96C: BF800000
	v_cndmask_b32_e64 v143, v41, v143, s[40:41]                // 00000000F970: D100008F 00A31F29
	v_mov_b32_e32 v62, v128                                    // 00000000F978: 7E7C0380
	v_max3_f32 v62, v128, v129, v62                            // 00000000F97C: D1D3003E 04FB0380
	v_max3_f32 v62, v130, v131, v62                            // 00000000F984: D1D3003E 04FB0782
	v_max3_f32 v62, v132, v133, v62                            // 00000000F98C: D1D3003E 04FB0B84
	v_max3_f32 v62, v134, v135, v62                            // 00000000F994: D1D3003E 04FB0F86
	v_max3_f32 v62, v136, v137, v62                            // 00000000F99C: D1D3003E 04FB1388
	v_max3_f32 v62, v138, v139, v62                            // 00000000F9A4: D1D3003E 04FB178A
	v_max3_f32 v62, v140, v141, v62                            // 00000000F9AC: D1D3003E 04FB1B8C
	v_max3_f32 v62, v142, v143, v62                            // 00000000F9B4: D1D3003E 04FB1F8E
	ds_write_b32 v11, v62 offset:16896                         // 00000000F9BC: D81A4200 00003E0B
	v_mul_u32_u24_dpp v41, v20, v68 row_newbcast:1 row_mask:0xf bank_mask:0xf// 00000000F9C4: 105288FA FF015114
	v_mul_u32_u24_dpp v42, v20, v68 row_newbcast:5 row_mask:0xf bank_mask:0xf// 00000000F9CC: 105488FA FF015514
	v_mul_u32_u24_dpp v43, v20, v68 row_newbcast:9 row_mask:0xf bank_mask:0xf// 00000000F9D4: 105688FA FF015914
	v_mul_u32_u24_dpp v44, v20, v68 row_newbcast:13 row_mask:0xf bank_mask:0xf// 00000000F9DC: 105888FA FF015D14
	v_add_u32_e32 v37, v41, v7                                 // 00000000F9E4: 684A0F29
	v_add_u32_e32 v38, v42, v7                                 // 00000000F9E8: 684C0F2A
	v_add_u32_e32 v39, v43, v7                                 // 00000000F9EC: 684E0F2B
	v_add_u32_e32 v40, v44, v7                                 // 00000000F9F0: 68500F2C
	v_mul_f32_e32 v224, v63, v224                              // 00000000F9F4: 0BC1C13F
	v_mul_f32_e32 v225, v63, v225                              // 00000000F9F8: 0BC3C33F
	v_mul_f32_e32 v226, v63, v226                              // 00000000F9FC: 0BC5C53F
	v_mul_f32_e32 v227, v63, v227                              // 00000000FA00: 0BC7C73F
	v_mul_f32_e32 v228, v63, v228                              // 00000000FA04: 0BC9C93F
	v_mul_f32_e32 v229, v63, v229                              // 00000000FA08: 0BCBCB3F
	v_mul_f32_e32 v230, v63, v230                              // 00000000FA0C: 0BCDCD3F
	v_mul_f32_e32 v231, v63, v231                              // 00000000FA10: 0BCFCF3F
	s_waitcnt lgkmcnt(0)                                       // 00000000FA14: BF8CC07F
	s_barrier                                                  // 00000000FA18: BF8A0000
	ds_read_b32 v80, v10 offset:16896                          // 00000000FA1C: D86C4200 5000000A
	ds_read_b32 v81, v10 offset:16960                          // 00000000FA24: D86C4240 5100000A
	ds_read_b32 v82, v10 offset:17024                          // 00000000FA2C: D86C4280 5200000A
	ds_read_b32 v83, v10 offset:17088                          // 00000000FA34: D86C42C0 5300000A
	ds_read_b32 v84, v10 offset:17152                          // 00000000FA3C: D86C4300 5400000A
	ds_read_b32 v85, v10 offset:17216                          // 00000000FA44: D86C4340 5500000A
	ds_read_b32 v86, v10 offset:17280                          // 00000000FA4C: D86C4380 5600000A
	ds_read_b32 v87, v10 offset:17344                          // 00000000FA54: D86C43C0 5700000A
	ds_read_b32 v88, v10 offset:17408                          // 00000000FA5C: D86C4400 5800000A
	ds_read_b32 v89, v10 offset:17472                          // 00000000FA64: D86C4440 5900000A
	ds_read_b32 v90, v10 offset:17536                          // 00000000FA6C: D86C4480 5A00000A
	ds_read_b32 v91, v10 offset:17600                          // 00000000FA74: D86C44C0 5B00000A
	ds_read_b32 v92, v10 offset:17664                          // 00000000FA7C: D86C4500 5C00000A
	ds_read_b32 v93, v10 offset:17728                          // 00000000FA84: D86C4540 5D00000A
	ds_read_b32 v94, v10 offset:17792                          // 00000000FA8C: D86C4580 5E00000A
	ds_read_b32 v95, v10 offset:17856                          // 00000000FA94: D86C45C0 5F00000A
	v_cvt_f32_i32_e32 v192, v192                               // 00000000FA9C: 7F800BC0
	v_cvt_f32_i32_e32 v193, v193                               // 00000000FAA0: 7F820BC1
	v_cvt_f32_i32_e32 v194, v194                               // 00000000FAA4: 7F840BC2
	v_cvt_f32_i32_e32 v195, v195                               // 00000000FAA8: 7F860BC3
	v_cvt_f32_i32_e32 v196, v196                               // 00000000FAAC: 7F880BC4
	v_cvt_f32_i32_e32 v197, v197                               // 00000000FAB0: 7F8A0BC5
	v_cvt_f32_i32_e32 v198, v198                               // 00000000FAB4: 7F8C0BC6
	v_cvt_f32_i32_e32 v199, v199                               // 00000000FAB8: 7F8E0BC7
	v_mul_f32_e32 v192, v58, v192                              // 00000000FABC: 0B81813A
	v_mul_f32_e32 v193, v58, v193                              // 00000000FAC0: 0B83833A
	v_mul_f32_e32 v194, v58, v194                              // 00000000FAC4: 0B85853A
	v_mul_f32_e32 v195, v58, v195                              // 00000000FAC8: 0B87873A
	v_mul_f32_e32 v196, v58, v196                              // 00000000FACC: 0B89893A
	v_mul_f32_e32 v197, v58, v197                              // 00000000FAD0: 0B8B8B3A
	v_mul_f32_e32 v198, v58, v198                              // 00000000FAD4: 0B8D8D3A
	v_mul_f32_e32 v199, v58, v199                              // 00000000FAD8: 0B8F8F3A
	s_waitcnt lgkmcnt(0)                                       // 00000000FADC: BF8CC07F
	v_max3_f32 v62, v80, v81, v62                              // 00000000FAE0: D1D3003E 04FAA350
	v_max3_f32 v62, v82, v83, v62                              // 00000000FAE8: D1D3003E 04FAA752
	v_max3_f32 v62, v84, v85, v62                              // 00000000FAF0: D1D3003E 04FAAB54
	v_max3_f32 v62, v86, v87, v62                              // 00000000FAF8: D1D3003E 04FAAF56
	v_max3_f32 v62, v88, v89, v62                              // 00000000FB00: D1D3003E 04FAB358
	v_max3_f32 v62, v90, v91, v62                              // 00000000FB08: D1D3003E 04FAB75A
	v_max3_f32 v62, v92, v93, v62                              // 00000000FB10: D1D3003E 04FABB5C
	v_max3_f32 v62, v94, v95, v62                              // 00000000FB18: D1D3003E 04FABF5E
	v_mov_b32_e32 v41, 0xff800000                              // 00000000FB20: 7E5202FF FF800000
	v_cmp_eq_u32_e64 s[40:41], v41, v14                        // 00000000FB28: D0CA0028 00021D29
	s_nop 1                                                    // 00000000FB30: BF800001
	v_max_f32_e32 v18, v62, v14                                // 00000000FB34: 16241D3E
	v_mul_f32_e32 v67, s64, v18                                // 00000000FB38: 0A862440
	v_fma_f32 v128, v128, s64, -v67                            // 00000000FB3C: D1CB0080 850C8180
	v_fma_f32 v129, v129, s64, -v67                            // 00000000FB44: D1CB0081 850C8181
	v_fma_f32 v130, v130, s64, -v67                            // 00000000FB4C: D1CB0082 850C8182
	v_fma_f32 v131, v131, s64, -v67                            // 00000000FB54: D1CB0083 850C8183
	v_fma_f32 v132, v132, s64, -v67                            // 00000000FB5C: D1CB0084 850C8184
	v_fma_f32 v133, v133, s64, -v67                            // 00000000FB64: D1CB0085 850C8185
	v_fma_f32 v134, v134, s64, -v67                            // 00000000FB6C: D1CB0086 850C8186
	v_fma_f32 v135, v135, s64, -v67                            // 00000000FB74: D1CB0087 850C8187
	v_fma_f32 v136, v136, s64, -v67                            // 00000000FB7C: D1CB0088 850C8188
	v_fma_f32 v137, v137, s64, -v67                            // 00000000FB84: D1CB0089 850C8189
	v_fma_f32 v138, v138, s64, -v67                            // 00000000FB8C: D1CB008A 850C818A
	v_fma_f32 v139, v139, s64, -v67                            // 00000000FB94: D1CB008B 850C818B
	v_fma_f32 v140, v140, s64, -v67                            // 00000000FB9C: D1CB008C 850C818C
	v_fma_f32 v141, v141, s64, -v67                            // 00000000FBA4: D1CB008D 850C818D
	v_fma_f32 v142, v142, s64, -v67                            // 00000000FBAC: D1CB008E 850C818E
	v_fma_f32 v143, v143, s64, -v67                            // 00000000FBB4: D1CB008F 850C818F
	v_exp_f32_e32 v128, v128                                   // 00000000FBBC: 7F004180
	v_exp_f32_e32 v129, v129                                   // 00000000FBC0: 7F024181
	v_exp_f32_e32 v130, v130                                   // 00000000FBC4: 7F044182
	v_exp_f32_e32 v131, v131                                   // 00000000FBC8: 7F064183
	v_exp_f32_e32 v132, v132                                   // 00000000FBCC: 7F084184
	v_exp_f32_e32 v133, v133                                   // 00000000FBD0: 7F0A4185
	v_exp_f32_e32 v134, v134                                   // 00000000FBD4: 7F0C4186
	v_exp_f32_e32 v135, v135                                   // 00000000FBD8: 7F0E4187
	v_exp_f32_e32 v136, v136                                   // 00000000FBDC: 7F104188
	v_exp_f32_e32 v137, v137                                   // 00000000FBE0: 7F124189
	v_exp_f32_e32 v138, v138                                   // 00000000FBE4: 7F14418A
	v_exp_f32_e32 v139, v139                                   // 00000000FBE8: 7F16418B
	v_exp_f32_e32 v140, v140                                   // 00000000FBEC: 7F18418C
	v_exp_f32_e32 v141, v141                                   // 00000000FBF0: 7F1A418D
	v_exp_f32_e32 v142, v142                                   // 00000000FBF4: 7F1C418E
	v_exp_f32_e32 v143, v143                                   // 00000000FBF8: 7F1E418F
	v_mul_f32_dpp v240, v252, v128 quad_perm:[0,0,0,0] row_mask:0xf bank_mask:0xf// 00000000FBFC: 0BE100FA FF0000FC
	v_mul_f32_dpp v241, v252, v129 quad_perm:[1,1,1,1] row_mask:0xf bank_mask:0xf// 00000000FC04: 0BE302FA FF0055FC
	v_mul_f32_dpp v242, v252, v130 quad_perm:[2,2,2,2] row_mask:0xf bank_mask:0xf// 00000000FC0C: 0BE504FA FF00AAFC
	v_mul_f32_dpp v243, v252, v131 quad_perm:[3,3,3,3] row_mask:0xf bank_mask:0xf// 00000000FC14: 0BE706FA FF00FFFC
	v_mul_f32_dpp v244, v253, v132 quad_perm:[0,0,0,0] row_mask:0xf bank_mask:0xf// 00000000FC1C: 0BE908FA FF0000FD
	v_mul_f32_dpp v245, v253, v133 quad_perm:[1,1,1,1] row_mask:0xf bank_mask:0xf// 00000000FC24: 0BEB0AFA FF0055FD
	v_mul_f32_dpp v246, v253, v134 quad_perm:[2,2,2,2] row_mask:0xf bank_mask:0xf// 00000000FC2C: 0BED0CFA FF00AAFD
	v_mul_f32_dpp v247, v253, v135 quad_perm:[3,3,3,3] row_mask:0xf bank_mask:0xf// 00000000FC34: 0BEF0EFA FF00FFFD
	v_mul_f32_dpp v248, v254, v136 quad_perm:[0,0,0,0] row_mask:0xf bank_mask:0xf// 00000000FC3C: 0BF110FA FF0000FE
	v_mul_f32_dpp v249, v254, v137 quad_perm:[1,1,1,1] row_mask:0xf bank_mask:0xf// 00000000FC44: 0BF312FA FF0055FE
	v_mul_f32_dpp v250, v254, v138 quad_perm:[2,2,2,2] row_mask:0xf bank_mask:0xf// 00000000FC4C: 0BF514FA FF00AAFE
	v_mul_f32_dpp v251, v254, v139 quad_perm:[3,3,3,3] row_mask:0xf bank_mask:0xf// 00000000FC54: 0BF716FA FF00FFFE
	v_mul_f32_dpp v252, v255, v140 quad_perm:[0,0,0,0] row_mask:0xf bank_mask:0xf// 00000000FC5C: 0BF918FA FF0000FF
	v_mul_f32_dpp v253, v255, v141 quad_perm:[1,1,1,1] row_mask:0xf bank_mask:0xf// 00000000FC64: 0BFB1AFA FF0055FF
	v_mul_f32_dpp v254, v255, v142 quad_perm:[2,2,2,2] row_mask:0xf bank_mask:0xf// 00000000FC6C: 0BFD1CFA FF00AAFF
	v_mul_f32_dpp v255, v255, v143 quad_perm:[3,3,3,3] row_mask:0xf bank_mask:0xf// 00000000FC74: 0BFF1EFA FF00FFFF
	v_mov_b32_e32 v62, 0x358637bd                              // 00000000FC7C: 7E7C02FF 358637BD
	v_max3_f32 v62, |v240|, |v241|, v62                        // 00000000FC84: D1D3033E 04FBE3F0
	v_max3_f32 v62, |v242|, |v243|, v62                        // 00000000FC8C: D1D3033E 04FBE7F2
	v_max3_f32 v62, |v244|, |v245|, v62                        // 00000000FC94: D1D3033E 04FBEBF4
	v_max3_f32 v62, |v246|, |v247|, v62                        // 00000000FC9C: D1D3033E 04FBEFF6
	v_max3_f32 v62, |v248|, |v249|, v62                        // 00000000FCA4: D1D3033E 04FBF3F8
	v_max3_f32 v62, |v250|, |v251|, v62                        // 00000000FCAC: D1D3033E 04FBF7FA
	v_max3_f32 v62, |v252|, |v253|, v62                        // 00000000FCB4: D1D3033E 04FBFBFC
	v_max3_f32 v62, |v254|, |v255|, v62                        // 00000000FCBC: D1D3033E 04FBFFFE
	ds_write_b32 v11, v62 offset:20992                         // 00000000FCC4: D81A5200 00003E0B
	v_sub_f32_e32 v63, v14, v18                                // 00000000FCCC: 047E250E
	v_cndmask_b32_e64 v63, v63, 0, s[40:41]                    // 00000000FCD0: D100003F 00A1013F
	v_mov_b32_e32 v14, v18                                     // 00000000FCD8: 7E1C0312
	v_mul_f32_e32 v63, s64, v63                                // 00000000FCDC: 0A7E7E40
	v_exp_f32_e32 v63, v63                                     // 00000000FCE0: 7E7E413F
	s_waitcnt lgkmcnt(0)                                       // 00000000FCE4: BF8CC07F
	s_barrier                                                  // 00000000FCE8: BF8A0000
	ds_read_b32 v80, v10 offset:20992                          // 00000000FCEC: D86C5200 5000000A
	ds_read_b32 v81, v10 offset:21056                          // 00000000FCF4: D86C5240 5100000A
	ds_read_b32 v82, v10 offset:21120                          // 00000000FCFC: D86C5280 5200000A
	ds_read_b32 v83, v10 offset:21184                          // 00000000FD04: D86C52C0 5300000A
	ds_read_b32 v84, v10 offset:21248                          // 00000000FD0C: D86C5300 5400000A
	ds_read_b32 v85, v10 offset:21312                          // 00000000FD14: D86C5340 5500000A
	ds_read_b32 v86, v10 offset:21376                          // 00000000FD1C: D86C5380 5600000A
	ds_read_b32 v87, v10 offset:21440                          // 00000000FD24: D86C53C0 5700000A
	ds_read_b32 v88, v10 offset:21504                          // 00000000FD2C: D86C5400 5800000A
	ds_read_b32 v89, v10 offset:21568                          // 00000000FD34: D86C5440 5900000A
	ds_read_b32 v90, v10 offset:21632                          // 00000000FD3C: D86C5480 5A00000A
	ds_read_b32 v91, v10 offset:21696                          // 00000000FD44: D86C54C0 5B00000A
	ds_read_b32 v92, v10 offset:21760                          // 00000000FD4C: D86C5500 5C00000A
	ds_read_b32 v93, v10 offset:21824                          // 00000000FD54: D86C5540 5D00000A
	ds_read_b32 v94, v10 offset:21888                          // 00000000FD5C: D86C5580 5E00000A
	ds_read_b32 v95, v10 offset:21952                          // 00000000FD64: D86C55C0 5F00000A
	v_mul_f32_e32 v47, v63, v47                                // 00000000FD6C: 0A5E5F3F
	v_mov_b32_e32 v18, v128                                    // 00000000FD70: 7E240380
	v_add_f32_e32 v18, v129, v18                               // 00000000FD74: 02242581
	v_add_f32_e32 v18, v130, v18                               // 00000000FD78: 02242582
	v_add_f32_e32 v18, v131, v18                               // 00000000FD7C: 02242583
	v_add_f32_e32 v18, v132, v18                               // 00000000FD80: 02242584
	v_add_f32_e32 v18, v133, v18                               // 00000000FD84: 02242585
	v_add_f32_e32 v18, v134, v18                               // 00000000FD88: 02242586
	v_add_f32_e32 v18, v135, v18                               // 00000000FD8C: 02242587
	v_add_f32_e32 v18, v136, v18                               // 00000000FD90: 02242588
	v_add_f32_e32 v18, v137, v18                               // 00000000FD94: 02242589
	v_add_f32_e32 v18, v138, v18                               // 00000000FD98: 0224258A
	v_add_f32_e32 v18, v139, v18                               // 00000000FD9C: 0224258B
	v_add_f32_e32 v18, v140, v18                               // 00000000FDA0: 0224258C
	v_add_f32_e32 v18, v141, v18                               // 00000000FDA4: 0224258D
	v_add_f32_e32 v18, v142, v18                               // 00000000FDA8: 0224258E
	v_add_f32_e32 v18, v143, v18                               // 00000000FDAC: 0224258F
	v_add_f32_e32 v47, v18, v47                                // 00000000FDB0: 025E5F12
	s_waitcnt lgkmcnt(0)                                       // 00000000FDB4: BF8CC07F
	v_max3_f32 v62, |v80|, |v81|, v62                          // 00000000FDB8: D1D3033E 04FAA350
	v_max3_f32 v62, |v82|, |v83|, v62                          // 00000000FDC0: D1D3033E 04FAA752
	v_max3_f32 v62, |v84|, |v85|, v62                          // 00000000FDC8: D1D3033E 04FAAB54
	v_max3_f32 v62, |v86|, |v87|, v62                          // 00000000FDD0: D1D3033E 04FAAF56
	v_max3_f32 v62, |v88|, |v89|, v62                          // 00000000FDD8: D1D3033E 04FAB358
	v_max3_f32 v62, |v90|, |v91|, v62                          // 00000000FDE0: D1D3033E 04FAB75A
	v_max3_f32 v62, |v92|, |v93|, v62                          // 00000000FDE8: D1D3033E 04FABB5C
	v_max3_f32 v62, |v94|, |v95|, v62                          // 00000000FDF0: D1D3033E 04FABF5E
	s_nop 2                                                    // 00000000FDF8: BF800002
	v_rcp_f32_e32 v62, v62                                     // 00000000FDFC: 7E7C453E
	s_nop 1                                                    // 00000000FE00: BF800001
	v_mul_f32_e32 v62, 0x42fe0000, v62                         // 00000000FE04: 0A7C7CFF 42FE0000
	v_mul_f32_e32 v128, v62, v240                              // 00000000FE0C: 0B01E13E
	v_mul_f32_e32 v129, v62, v241                              // 00000000FE10: 0B03E33E
	v_mul_f32_e32 v130, v62, v242                              // 00000000FE14: 0B05E53E
	v_mul_f32_e32 v131, v62, v243                              // 00000000FE18: 0B07E73E
	v_mul_f32_e32 v132, v62, v244                              // 00000000FE1C: 0B09E93E
	v_mul_f32_e32 v133, v62, v245                              // 00000000FE20: 0B0BEB3E
	v_mul_f32_e32 v134, v62, v246                              // 00000000FE24: 0B0DED3E
	v_mul_f32_e32 v135, v62, v247                              // 00000000FE28: 0B0FEF3E
	v_mul_f32_e32 v136, v62, v248                              // 00000000FE2C: 0B11F13E
	v_mul_f32_e32 v137, v62, v249                              // 00000000FE30: 0B13F33E
	v_mul_f32_e32 v138, v62, v250                              // 00000000FE34: 0B15F53E
	v_mul_f32_e32 v139, v62, v251                              // 00000000FE38: 0B17F73E
	v_mul_f32_e32 v140, v62, v252                              // 00000000FE3C: 0B19F93E
	v_mul_f32_e32 v141, v62, v253                              // 00000000FE40: 0B1BFB3E
	v_mul_f32_e32 v142, v62, v254                              // 00000000FE44: 0B1DFD3E
	v_mul_f32_e32 v143, v62, v255                              // 00000000FE48: 0B1FFF3E
	v_cvt_i32_f32_e32 v128, v128                               // 00000000FE4C: 7F001180
	v_cvt_i32_f32_e32 v129, v129                               // 00000000FE50: 7F021181
	v_cvt_i32_f32_e32 v130, v130                               // 00000000FE54: 7F041182
	v_cvt_i32_f32_e32 v131, v131                               // 00000000FE58: 7F061183
	v_cvt_i32_f32_e32 v132, v132                               // 00000000FE5C: 7F081184
	v_cvt_i32_f32_e32 v133, v133                               // 00000000FE60: 7F0A1185
	v_cvt_i32_f32_e32 v134, v134                               // 00000000FE64: 7F0C1186
	v_cvt_i32_f32_e32 v135, v135                               // 00000000FE68: 7F0E1187
	v_cvt_i32_f32_e32 v136, v136                               // 00000000FE6C: 7F101188
	v_cvt_i32_f32_e32 v137, v137                               // 00000000FE70: 7F121189
	v_cvt_i32_f32_e32 v138, v138                               // 00000000FE74: 7F14118A
	v_cvt_i32_f32_e32 v139, v139                               // 00000000FE78: 7F16118B
	v_cvt_i32_f32_e32 v140, v140                               // 00000000FE7C: 7F18118C
	v_cvt_i32_f32_e32 v141, v141                               // 00000000FE80: 7F1A118D
	v_cvt_i32_f32_e32 v142, v142                               // 00000000FE84: 7F1C118E
	v_cvt_i32_f32_e32 v143, v143                               // 00000000FE88: 7F1E118F
	v_perm_b32 v128, v129, v128, s53                           // 00000000FE8C: D1ED0080 00D70181
	v_perm_b32 v128, v130, v128, s54                           // 00000000FE94: D1ED0080 00DB0182
	v_perm_b32 v128, v131, v128, s55                           // 00000000FE9C: D1ED0080 00DF0183
	v_perm_b32 v129, v133, v132, s53                           // 00000000FEA4: D1ED0081 00D70985
	v_perm_b32 v129, v134, v129, s54                           // 00000000FEAC: D1ED0081 00DB0386
	v_perm_b32 v129, v135, v129, s55                           // 00000000FEB4: D1ED0081 00DF0387
	v_perm_b32 v130, v137, v136, s53                           // 00000000FEBC: D1ED0082 00D71189
	v_perm_b32 v130, v138, v130, s54                           // 00000000FEC4: D1ED0082 00DB058A
	v_perm_b32 v130, v139, v130, s55                           // 00000000FECC: D1ED0082 00DF058B
	v_perm_b32 v131, v141, v140, s53                           // 00000000FED4: D1ED0083 00D7198D
	v_perm_b32 v131, v142, v131, s54                           // 00000000FEDC: D1ED0083 00DB078E
	v_perm_b32 v131, v143, v131, s55                           // 00000000FEE4: D1ED0083 00DF078F
	ds_write_b32 v13, v128 offset:25088                        // 00000000FEEC: D81A6200 0000800D
	ds_write_b32 v13, v129 offset:26112                        // 00000000FEF4: D81A6600 0000810D
	ds_write_b32 v13, v130 offset:27136                        // 00000000FEFC: D81A6A00 0000820D
	ds_write_b32 v13, v131 offset:28160                        // 00000000FF04: D81A6E00 0000830D
	v_add_f32_e32 v224, v224, v192                             // 00000000FF0C: 03C181E0
	v_add_f32_e32 v225, v225, v193                             // 00000000FF10: 03C383E1
	v_add_f32_e32 v226, v226, v194                             // 00000000FF14: 03C585E2
	v_add_f32_e32 v227, v227, v195                             // 00000000FF18: 03C787E3
	v_add_f32_e32 v228, v228, v196                             // 00000000FF1C: 03C989E4
	v_add_f32_e32 v229, v229, v197                             // 00000000FF20: 03CB8BE5
	v_add_f32_e32 v230, v230, v198                             // 00000000FF24: 03CD8DE6
	v_add_f32_e32 v231, v231, v199                             // 00000000FF28: 03CF8FE7
	v_rcp_f32_e32 v58, v62                                     // 00000000FF2C: 7E74453E
	s_waitcnt lgkmcnt(0)                                       // 00000000FF30: BF8CC07F
	s_barrier                                                  // 00000000FF34: BF8A0000
	ds_read_b64 v[128:129], v12 offset:25088                   // 00000000FF38: D8EC6200 8000000C
	ds_read_b64 v[130:131], v12 offset:25216                   // 00000000FF40: D8EC6280 8200000C
	ds_read_b64 v[132:133], v12 offset:26112                   // 00000000FF48: D8EC6600 8400000C
	ds_read_b64 v[134:135], v12 offset:26240                   // 00000000FF50: D8EC6680 8600000C
	ds_read_b64 v[136:137], v12 offset:27136                   // 00000000FF58: D8EC6A00 8800000C
	ds_read_b64 v[138:139], v12 offset:27264                   // 00000000FF60: D8EC6A80 8A00000C
	ds_read_b64 v[140:141], v12 offset:28160                   // 00000000FF68: D8EC6E00 8C00000C
	ds_read_b64 v[142:143], v12 offset:28288                   // 00000000FF70: D8EC6E80 8E00000C
	v_mov_b32_dpp v41, v52 row_shr:4 row_mask:0xf bank_mask:0xf// 00000000FF78: 7E5202FA FF011434
	v_mov_b32_dpp v42, v52 row_shl:4 row_mask:0xf bank_mask:0xf// 00000000FF80: 7E5402FA FF010434
	v_cndmask_b32_e64 v248, v52, v41, s[44:45]                 // 00000000FF88: D10000F8 00B25334
	v_cndmask_b32_e64 v249, v42, v52, s[44:45]                 // 00000000FF90: D10000F9 00B2692A
	v_mov_b32_dpp v41, v248 row_shr:8 row_mask:0xf bank_mask:0xf// 00000000FF98: 7E5202FA FF0118F8
	v_mov_b32_dpp v42, v248 row_shl:8 row_mask:0xf bank_mask:0xf// 00000000FFA0: 7E5402FA FF0108F8
	v_mov_b32_dpp v43, v249 row_shr:8 row_mask:0xf bank_mask:0xf// 00000000FFA8: 7E5602FA FF0118F9
	v_mov_b32_dpp v44, v249 row_shl:8 row_mask:0xf bank_mask:0xf// 00000000FFB0: 7E5802FA FF0108F9
	v_mov_b32_e32 v45, v248                                    // 00000000FFB8: 7E5A03F8
	v_mov_b32_e32 v46, v249                                    // 00000000FFBC: 7E5C03F9
	v_cndmask_b32_e64 v248, v45, v41, s[42:43]                 // 00000000FFC0: D10000F8 00AA532D
	v_cndmask_b32_e64 v250, v45, v42, s[78:79]                 // 00000000FFC8: D10000FA 013A552D
	v_cndmask_b32_e64 v249, v46, v43, s[42:43]                 // 00000000FFD0: D10000F9 00AA572E
	v_cndmask_b32_e64 v251, v46, v44, s[78:79]                 // 00000000FFD8: D10000FB 013A592E
	v_mov_b32_dpp v41, v72 row_shr:4 row_mask:0xf bank_mask:0xf// 00000000FFE0: 7E5202FA FF011448
	v_mov_b32_dpp v42, v72 row_shl:4 row_mask:0xf bank_mask:0xf// 00000000FFE8: 7E5402FA FF010448
	v_cndmask_b32_e64 v252, v72, v41, s[44:45]                 // 00000000FFF0: D10000FC 00B25348
	v_cndmask_b32_e64 v253, v42, v72, s[44:45]                 // 00000000FFF8: D10000FD 00B2912A
	v_mov_b32_dpp v41, v252 row_shr:8 row_mask:0xf bank_mask:0xf// 000000010000: 7E5202FA FF0118FC
	v_mov_b32_dpp v42, v252 row_shl:8 row_mask:0xf bank_mask:0xf// 000000010008: 7E5402FA FF0108FC
	v_mov_b32_dpp v43, v253 row_shr:8 row_mask:0xf bank_mask:0xf// 000000010010: 7E5602FA FF0118FD
	v_mov_b32_dpp v44, v253 row_shl:8 row_mask:0xf bank_mask:0xf// 000000010018: 7E5802FA FF0108FD
	v_mov_b32_e32 v45, v252                                    // 000000010020: 7E5A03FC
	v_mov_b32_e32 v46, v253                                    // 000000010024: 7E5C03FD
	v_cndmask_b32_e64 v252, v45, v41, s[42:43]                 // 000000010028: D10000FC 00AA532D
	v_cndmask_b32_e64 v254, v45, v42, s[78:79]                 // 000000010030: D10000FE 013A552D
	v_cndmask_b32_e64 v253, v46, v43, s[42:43]                 // 000000010038: D10000FD 00AA572E
	v_cndmask_b32_e64 v255, v46, v44, s[78:79]                 // 000000010040: D10000FF 013A592E
	v_cvt_f32_i32_e32 v144, v144                               // 000000010048: 7F200B90
	v_cvt_f32_i32_e32 v145, v145                               // 00000001004C: 7F220B91
	v_cvt_f32_i32_e32 v146, v146                               // 000000010050: 7F240B92
	v_cvt_f32_i32_e32 v147, v147                               // 000000010054: 7F260B93
	v_cvt_f32_i32_e32 v148, v148                               // 000000010058: 7F280B94
	v_cvt_f32_i32_e32 v149, v149                               // 00000001005C: 7F2A0B95
	v_cvt_f32_i32_e32 v150, v150                               // 000000010060: 7F2C0B96
	v_cvt_f32_i32_e32 v151, v151                               // 000000010064: 7F2E0B97
	v_cvt_f32_i32_e32 v152, v152                               // 000000010068: 7F300B98
	v_cvt_f32_i32_e32 v153, v153                               // 00000001006C: 7F320B99
	v_cvt_f32_i32_e32 v154, v154                               // 000000010070: 7F340B9A
	v_cvt_f32_i32_e32 v155, v155                               // 000000010074: 7F360B9B
	v_cvt_f32_i32_e32 v156, v156                               // 000000010078: 7F380B9C
	v_cvt_f32_i32_e32 v157, v157                               // 00000001007C: 7F3A0B9D
	v_cvt_f32_i32_e32 v158, v158                               // 000000010080: 7F3C0B9E
	v_cvt_f32_i32_e32 v159, v159                               // 000000010084: 7F3E0B9F
	v_mul_f32_e32 v144, v55, v144                              // 000000010088: 0B212137
	v_mul_f32_e32 v145, v55, v145                              // 00000001008C: 0B232337
	v_mul_f32_e32 v146, v55, v146                              // 000000010090: 0B252537
	v_mul_f32_e32 v147, v55, v147                              // 000000010094: 0B272737
	v_mul_f32_e32 v148, v55, v148                              // 000000010098: 0B292937
	v_mul_f32_e32 v149, v55, v149                              // 00000001009C: 0B2B2B37
	v_mul_f32_e32 v150, v55, v150                              // 0000000100A0: 0B2D2D37
	v_mul_f32_e32 v151, v55, v151                              // 0000000100A4: 0B2F2F37
	v_mul_f32_e32 v152, v55, v152                              // 0000000100A8: 0B313137
	v_mul_f32_e32 v153, v55, v153                              // 0000000100AC: 0B333337
	v_mul_f32_e32 v154, v55, v154                              // 0000000100B0: 0B353537
	v_mul_f32_e32 v155, v55, v155                              // 0000000100B4: 0B373737
	v_mul_f32_e32 v156, v55, v156                              // 0000000100B8: 0B393937
	v_mul_f32_e32 v157, v55, v157                              // 0000000100BC: 0B3B3B37
	v_mul_f32_e32 v158, v55, v158                              // 0000000100C0: 0B3D3D37
	v_mul_f32_e32 v159, v55, v159                              // 0000000100C4: 0B3F3F37
	v_mul_f32_dpp v144, v248, v144 quad_perm:[0,0,0,0] row_mask:0xf bank_mask:0xf// 0000000100C8: 0B2120FA FF0000F8
	v_mul_f32_dpp v145, v248, v145 quad_perm:[1,1,1,1] row_mask:0xf bank_mask:0xf// 0000000100D0: 0B2322FA FF0055F8
	v_mul_f32_dpp v146, v248, v146 quad_perm:[2,2,2,2] row_mask:0xf bank_mask:0xf// 0000000100D8: 0B2524FA FF00AAF8
	v_mul_f32_dpp v147, v248, v147 quad_perm:[3,3,3,3] row_mask:0xf bank_mask:0xf// 0000000100E0: 0B2726FA FF00FFF8
	v_mul_f32_dpp v148, v249, v148 quad_perm:[0,0,0,0] row_mask:0xf bank_mask:0xf// 0000000100E8: 0B2928FA FF0000F9
	v_mul_f32_dpp v149, v249, v149 quad_perm:[1,1,1,1] row_mask:0xf bank_mask:0xf// 0000000100F0: 0B2B2AFA FF0055F9
	v_mul_f32_dpp v150, v249, v150 quad_perm:[2,2,2,2] row_mask:0xf bank_mask:0xf// 0000000100F8: 0B2D2CFA FF00AAF9
	v_mul_f32_dpp v151, v249, v151 quad_perm:[3,3,3,3] row_mask:0xf bank_mask:0xf// 000000010100: 0B2F2EFA FF00FFF9
	v_mul_f32_dpp v152, v250, v152 quad_perm:[0,0,0,0] row_mask:0xf bank_mask:0xf// 000000010108: 0B3130FA FF0000FA
	v_mul_f32_dpp v153, v250, v153 quad_perm:[1,1,1,1] row_mask:0xf bank_mask:0xf// 000000010110: 0B3332FA FF0055FA
	v_mul_f32_dpp v154, v250, v154 quad_perm:[2,2,2,2] row_mask:0xf bank_mask:0xf// 000000010118: 0B3534FA FF00AAFA
	v_mul_f32_dpp v155, v250, v155 quad_perm:[3,3,3,3] row_mask:0xf bank_mask:0xf// 000000010120: 0B3736FA FF00FFFA
	v_mul_f32_dpp v156, v251, v156 quad_perm:[0,0,0,0] row_mask:0xf bank_mask:0xf// 000000010128: 0B3938FA FF0000FB
	v_mul_f32_dpp v157, v251, v157 quad_perm:[1,1,1,1] row_mask:0xf bank_mask:0xf// 000000010130: 0B3B3AFA FF0055FB
	v_mul_f32_dpp v158, v251, v158 quad_perm:[2,2,2,2] row_mask:0xf bank_mask:0xf// 000000010138: 0B3D3CFA FF00AAFB
	v_mul_f32_dpp v159, v251, v159 quad_perm:[3,3,3,3] row_mask:0xf bank_mask:0xf// 000000010140: 0B3F3EFA FF00FFFB
	s_and_b32 s60, s72, 0xff                                   // 000000010148: 863CFF48 000000FF
	v_mov_b32_e32 v42, s60                                     // 000000010150: 7E54023C
	v_lshrrev_b32_e32 v240, 4, v0                              // 000000010154: 21E00084
	v_mul_i32_i24_e32 v240, 4, v240                            // 000000010158: 0DE1E084
	s_mul_i32 s60, s7, 16                                      // 00000001015C: 923C9007
	v_add_u32_e32 v240, s60, v240                              // 000000010160: 69E1E03C
	v_add_u32_e32 v241, 1, v240                                // 000000010164: 69E3E081
	v_add_u32_e32 v242, 2, v240                                // 000000010168: 69E5E082
	v_add_u32_e32 v243, 3, v240                                // 00000001016C: 69E7E083
	v_mov_b32_e32 v41, 0xff800000                              // 000000010170: 7E5202FF FF800000
	v_cmp_lt_u32_e64 s[40:41], v240, v42                       // 000000010178: D0C90028 000255F0
	v_add_u32_e32 v240, 64, v240                               // 000000010180: 69E1E0C0
	s_nop 0                                                    // 000000010184: BF800000
	v_cndmask_b32_e64 v144, v41, v144, s[40:41]                // 000000010188: D1000090 00A32129
	v_cmp_lt_u32_e64 s[40:41], v241, v42                       // 000000010190: D0C90028 000255F1
	v_add_u32_e32 v241, 64, v241                               // 000000010198: 69E3E2C0
	s_nop 0                                                    // 00000001019C: BF800000
	v_cndmask_b32_e64 v145, v41, v145, s[40:41]                // 0000000101A0: D1000091 00A32329
	v_cmp_lt_u32_e64 s[40:41], v242, v42                       // 0000000101A8: D0C90028 000255F2
	v_add_u32_e32 v242, 64, v242                               // 0000000101B0: 69E5E4C0
	s_nop 0                                                    // 0000000101B4: BF800000
	v_cndmask_b32_e64 v146, v41, v146, s[40:41]                // 0000000101B8: D1000092 00A32529
	v_cmp_lt_u32_e64 s[40:41], v243, v42                       // 0000000101C0: D0C90028 000255F3
	v_add_u32_e32 v243, 64, v243                               // 0000000101C8: 69E7E6C0
	s_nop 0                                                    // 0000000101CC: BF800000
	v_cndmask_b32_e64 v147, v41, v147, s[40:41]                // 0000000101D0: D1000093 00A32729
	v_cmp_lt_u32_e64 s[40:41], v240, v42                       // 0000000101D8: D0C90028 000255F0
	v_add_u32_e32 v240, 64, v240                               // 0000000101E0: 69E1E0C0
	s_nop 0                                                    // 0000000101E4: BF800000
	v_cndmask_b32_e64 v148, v41, v148, s[40:41]                // 0000000101E8: D1000094 00A32929
	v_cmp_lt_u32_e64 s[40:41], v241, v42                       // 0000000101F0: D0C90028 000255F1
	v_add_u32_e32 v241, 64, v241                               // 0000000101F8: 69E3E2C0
	s_nop 0                                                    // 0000000101FC: BF800000
	v_cndmask_b32_e64 v149, v41, v149, s[40:41]                // 000000010200: D1000095 00A32B29
	v_cmp_lt_u32_e64 s[40:41], v242, v42                       // 000000010208: D0C90028 000255F2
	v_add_u32_e32 v242, 64, v242                               // 000000010210: 69E5E4C0
	s_nop 0                                                    // 000000010214: BF800000
	v_cndmask_b32_e64 v150, v41, v150, s[40:41]                // 000000010218: D1000096 00A32D29
	v_cmp_lt_u32_e64 s[40:41], v243, v42                       // 000000010220: D0C90028 000255F3
	v_add_u32_e32 v243, 64, v243                               // 000000010228: 69E7E6C0
	s_nop 0                                                    // 00000001022C: BF800000
	v_cndmask_b32_e64 v151, v41, v151, s[40:41]                // 000000010230: D1000097 00A32F29
	v_cmp_lt_u32_e64 s[40:41], v240, v42                       // 000000010238: D0C90028 000255F0
	v_add_u32_e32 v240, 64, v240                               // 000000010240: 69E1E0C0
	s_nop 0                                                    // 000000010244: BF800000
	v_cndmask_b32_e64 v152, v41, v152, s[40:41]                // 000000010248: D1000098 00A33129
	v_cmp_lt_u32_e64 s[40:41], v241, v42                       // 000000010250: D0C90028 000255F1
	v_add_u32_e32 v241, 64, v241                               // 000000010258: 69E3E2C0
	s_nop 0                                                    // 00000001025C: BF800000
	v_cndmask_b32_e64 v153, v41, v153, s[40:41]                // 000000010260: D1000099 00A33329
	v_cmp_lt_u32_e64 s[40:41], v242, v42                       // 000000010268: D0C90028 000255F2
	v_add_u32_e32 v242, 64, v242                               // 000000010270: 69E5E4C0
	s_nop 0                                                    // 000000010274: BF800000
	v_cndmask_b32_e64 v154, v41, v154, s[40:41]                // 000000010278: D100009A 00A33529
	v_cmp_lt_u32_e64 s[40:41], v243, v42                       // 000000010280: D0C90028 000255F3
	v_add_u32_e32 v243, 64, v243                               // 000000010288: 69E7E6C0
	s_nop 0                                                    // 00000001028C: BF800000
	v_cndmask_b32_e64 v155, v41, v155, s[40:41]                // 000000010290: D100009B 00A33729
	v_cmp_lt_u32_e64 s[40:41], v240, v42                       // 000000010298: D0C90028 000255F0
	v_add_u32_e32 v240, 64, v240                               // 0000000102A0: 69E1E0C0
	s_nop 0                                                    // 0000000102A4: BF800000
	v_cndmask_b32_e64 v156, v41, v156, s[40:41]                // 0000000102A8: D100009C 00A33929
	v_cmp_lt_u32_e64 s[40:41], v241, v42                       // 0000000102B0: D0C90028 000255F1
	v_add_u32_e32 v241, 64, v241                               // 0000000102B8: 69E3E2C0
	s_nop 0                                                    // 0000000102BC: BF800000
	v_cndmask_b32_e64 v157, v41, v157, s[40:41]                // 0000000102C0: D100009D 00A33B29
	v_cmp_lt_u32_e64 s[40:41], v242, v42                       // 0000000102C8: D0C90028 000255F2
	v_add_u32_e32 v242, 64, v242                               // 0000000102D0: 69E5E4C0
	s_nop 0                                                    // 0000000102D4: BF800000
	v_cndmask_b32_e64 v158, v41, v158, s[40:41]                // 0000000102D8: D100009E 00A33D29
	v_cmp_lt_u32_e64 s[40:41], v243, v42                       // 0000000102E0: D0C90028 000255F3
	v_add_u32_e32 v243, 64, v243                               // 0000000102E8: 69E7E6C0
	s_nop 0                                                    // 0000000102EC: BF800000
	v_cndmask_b32_e64 v159, v41, v159, s[40:41]                // 0000000102F0: D100009F 00A33F29
	v_mov_b32_e32 v62, v144                                    // 0000000102F8: 7E7C0390
	v_max3_f32 v62, v144, v145, v62                            // 0000000102FC: D1D3003E 04FB2390
	v_max3_f32 v62, v146, v147, v62                            // 000000010304: D1D3003E 04FB2792
	v_max3_f32 v62, v148, v149, v62                            // 00000001030C: D1D3003E 04FB2B94
	v_max3_f32 v62, v150, v151, v62                            // 000000010314: D1D3003E 04FB2F96
	v_max3_f32 v62, v152, v153, v62                            // 00000001031C: D1D3003E 04FB3398
	v_max3_f32 v62, v154, v155, v62                            // 000000010324: D1D3003E 04FB379A
	v_max3_f32 v62, v156, v157, v62                            // 00000001032C: D1D3003E 04FB3B9C
	v_max3_f32 v62, v158, v159, v62                            // 000000010334: D1D3003E 04FB3F9E
	ds_write_b32 v11, v62 offset:16896                         // 00000001033C: D81A4200 00003E0B
	v_mul_f32_e32 v232, v64, v232                              // 000000010344: 0BD1D140
	v_mul_f32_e32 v233, v64, v233                              // 000000010348: 0BD3D340
	v_mul_f32_e32 v234, v64, v234                              // 00000001034C: 0BD5D540
	v_mul_f32_e32 v235, v64, v235                              // 000000010350: 0BD7D740
	v_mul_f32_e32 v236, v64, v236                              // 000000010354: 0BD9D940
	v_mul_f32_e32 v237, v64, v237                              // 000000010358: 0BDBDB40
	v_mul_f32_e32 v238, v64, v238                              // 00000001035C: 0BDDDD40
	v_mul_f32_e32 v239, v64, v239                              // 000000010360: 0BDFDF40
	s_waitcnt lgkmcnt(0)                                       // 000000010364: BF8CC07F
	s_barrier                                                  // 000000010368: BF8A0000
	ds_read_b32 v80, v10 offset:16896                          // 00000001036C: D86C4200 5000000A
	ds_read_b32 v81, v10 offset:16960                          // 000000010374: D86C4240 5100000A
	ds_read_b32 v82, v10 offset:17024                          // 00000001037C: D86C4280 5200000A
	ds_read_b32 v83, v10 offset:17088                          // 000000010384: D86C42C0 5300000A
	ds_read_b32 v84, v10 offset:17152                          // 00000001038C: D86C4300 5400000A
	ds_read_b32 v85, v10 offset:17216                          // 000000010394: D86C4340 5500000A
	ds_read_b32 v86, v10 offset:17280                          // 00000001039C: D86C4380 5600000A
	ds_read_b32 v87, v10 offset:17344                          // 0000000103A4: D86C43C0 5700000A
	ds_read_b32 v88, v10 offset:17408                          // 0000000103AC: D86C4400 5800000A
	ds_read_b32 v89, v10 offset:17472                          // 0000000103B4: D86C4440 5900000A
	ds_read_b32 v90, v10 offset:17536                          // 0000000103BC: D86C4480 5A00000A
	ds_read_b32 v91, v10 offset:17600                          // 0000000103C4: D86C44C0 5B00000A
	ds_read_b32 v92, v10 offset:17664                          // 0000000103CC: D86C4500 5C00000A
	ds_read_b32 v93, v10 offset:17728                          // 0000000103D4: D86C4540 5D00000A
	ds_read_b32 v94, v10 offset:17792                          // 0000000103DC: D86C4580 5E00000A
	ds_read_b32 v95, v10 offset:17856                          // 0000000103E4: D86C45C0 5F00000A
	v_cvt_f32_i32_e32 v200, v200                               // 0000000103EC: 7F900BC8
	v_cvt_f32_i32_e32 v201, v201                               // 0000000103F0: 7F920BC9
	v_cvt_f32_i32_e32 v202, v202                               // 0000000103F4: 7F940BCA
	v_cvt_f32_i32_e32 v203, v203                               // 0000000103F8: 7F960BCB
	v_cvt_f32_i32_e32 v204, v204                               // 0000000103FC: 7F980BCC
	v_cvt_f32_i32_e32 v205, v205                               // 000000010400: 7F9A0BCD
	v_cvt_f32_i32_e32 v206, v206                               // 000000010404: 7F9C0BCE
	v_cvt_f32_i32_e32 v207, v207                               // 000000010408: 7F9E0BCF
	v_mul_f32_e32 v200, v59, v200                              // 00000001040C: 0B91913B
	v_mul_f32_e32 v201, v59, v201                              // 000000010410: 0B93933B
	v_mul_f32_e32 v202, v59, v202                              // 000000010414: 0B95953B
	v_mul_f32_e32 v203, v59, v203                              // 000000010418: 0B97973B
	v_mul_f32_e32 v204, v59, v204                              // 00000001041C: 0B99993B
	v_mul_f32_e32 v205, v59, v205                              // 000000010420: 0B9B9B3B
	v_mul_f32_e32 v206, v59, v206                              // 000000010424: 0B9D9D3B
	v_mul_f32_e32 v207, v59, v207                              // 000000010428: 0B9F9F3B
	s_waitcnt lgkmcnt(0)                                       // 00000001042C: BF8CC07F
	v_max3_f32 v62, v80, v81, v62                              // 000000010430: D1D3003E 04FAA350
	v_max3_f32 v62, v82, v83, v62                              // 000000010438: D1D3003E 04FAA752
	v_max3_f32 v62, v84, v85, v62                              // 000000010440: D1D3003E 04FAAB54
	v_max3_f32 v62, v86, v87, v62                              // 000000010448: D1D3003E 04FAAF56
	v_max3_f32 v62, v88, v89, v62                              // 000000010450: D1D3003E 04FAB358
	v_max3_f32 v62, v90, v91, v62                              // 000000010458: D1D3003E 04FAB75A
	v_max3_f32 v62, v92, v93, v62                              // 000000010460: D1D3003E 04FABB5C
	v_max3_f32 v62, v94, v95, v62                              // 000000010468: D1D3003E 04FABF5E
	v_mov_b32_e32 v41, 0xff800000                              // 000000010470: 7E5202FF FF800000
	v_cmp_eq_u32_e64 s[40:41], v41, v15                        // 000000010478: D0CA0028 00021F29
	s_nop 1                                                    // 000000010480: BF800001
	v_max_f32_e32 v18, v62, v15                                // 000000010484: 16241F3E
	v_mul_f32_e32 v67, s64, v18                                // 000000010488: 0A862440
	v_fma_f32 v144, v144, s64, -v67                            // 00000001048C: D1CB0090 850C8190
	v_fma_f32 v145, v145, s64, -v67                            // 000000010494: D1CB0091 850C8191
	v_fma_f32 v146, v146, s64, -v67                            // 00000001049C: D1CB0092 850C8192
	v_fma_f32 v147, v147, s64, -v67                            // 0000000104A4: D1CB0093 850C8193
	v_fma_f32 v148, v148, s64, -v67                            // 0000000104AC: D1CB0094 850C8194
	v_fma_f32 v149, v149, s64, -v67                            // 0000000104B4: D1CB0095 850C8195
	v_fma_f32 v150, v150, s64, -v67                            // 0000000104BC: D1CB0096 850C8196
	v_fma_f32 v151, v151, s64, -v67                            // 0000000104C4: D1CB0097 850C8197
	v_fma_f32 v152, v152, s64, -v67                            // 0000000104CC: D1CB0098 850C8198
	v_fma_f32 v153, v153, s64, -v67                            // 0000000104D4: D1CB0099 850C8199
	v_fma_f32 v154, v154, s64, -v67                            // 0000000104DC: D1CB009A 850C819A
	v_fma_f32 v155, v155, s64, -v67                            // 0000000104E4: D1CB009B 850C819B
	v_fma_f32 v156, v156, s64, -v67                            // 0000000104EC: D1CB009C 850C819C
	v_fma_f32 v157, v157, s64, -v67                            // 0000000104F4: D1CB009D 850C819D
	v_fma_f32 v158, v158, s64, -v67                            // 0000000104FC: D1CB009E 850C819E
	v_fma_f32 v159, v159, s64, -v67                            // 000000010504: D1CB009F 850C819F
	v_exp_f32_e32 v144, v144                                   // 00000001050C: 7F204190
	v_exp_f32_e32 v145, v145                                   // 000000010510: 7F224191
	v_exp_f32_e32 v146, v146                                   // 000000010514: 7F244192
	v_exp_f32_e32 v147, v147                                   // 000000010518: 7F264193
	v_exp_f32_e32 v148, v148                                   // 00000001051C: 7F284194
	v_exp_f32_e32 v149, v149                                   // 000000010520: 7F2A4195
	v_exp_f32_e32 v150, v150                                   // 000000010524: 7F2C4196
	v_exp_f32_e32 v151, v151                                   // 000000010528: 7F2E4197
	v_exp_f32_e32 v152, v152                                   // 00000001052C: 7F304198
	v_exp_f32_e32 v153, v153                                   // 000000010530: 7F324199
	v_exp_f32_e32 v154, v154                                   // 000000010534: 7F34419A
	v_exp_f32_e32 v155, v155                                   // 000000010538: 7F36419B
	v_exp_f32_e32 v156, v156                                   // 00000001053C: 7F38419C
	v_exp_f32_e32 v157, v157                                   // 000000010540: 7F3A419D
	v_exp_f32_e32 v158, v158                                   // 000000010544: 7F3C419E
	v_exp_f32_e32 v159, v159                                   // 000000010548: 7F3E419F
	v_mul_f32_dpp v240, v252, v144 quad_perm:[0,0,0,0] row_mask:0xf bank_mask:0xf// 00000001054C: 0BE120FA FF0000FC
	v_mul_f32_dpp v241, v252, v145 quad_perm:[1,1,1,1] row_mask:0xf bank_mask:0xf// 000000010554: 0BE322FA FF0055FC
	v_mul_f32_dpp v242, v252, v146 quad_perm:[2,2,2,2] row_mask:0xf bank_mask:0xf// 00000001055C: 0BE524FA FF00AAFC
	v_mul_f32_dpp v243, v252, v147 quad_perm:[3,3,3,3] row_mask:0xf bank_mask:0xf// 000000010564: 0BE726FA FF00FFFC
	v_mul_f32_dpp v244, v253, v148 quad_perm:[0,0,0,0] row_mask:0xf bank_mask:0xf// 00000001056C: 0BE928FA FF0000FD
	v_mul_f32_dpp v245, v253, v149 quad_perm:[1,1,1,1] row_mask:0xf bank_mask:0xf// 000000010574: 0BEB2AFA FF0055FD
	v_mul_f32_dpp v246, v253, v150 quad_perm:[2,2,2,2] row_mask:0xf bank_mask:0xf// 00000001057C: 0BED2CFA FF00AAFD
	v_mul_f32_dpp v247, v253, v151 quad_perm:[3,3,3,3] row_mask:0xf bank_mask:0xf// 000000010584: 0BEF2EFA FF00FFFD
	v_mul_f32_dpp v248, v254, v152 quad_perm:[0,0,0,0] row_mask:0xf bank_mask:0xf// 00000001058C: 0BF130FA FF0000FE
	v_mul_f32_dpp v249, v254, v153 quad_perm:[1,1,1,1] row_mask:0xf bank_mask:0xf// 000000010594: 0BF332FA FF0055FE
	v_mul_f32_dpp v250, v254, v154 quad_perm:[2,2,2,2] row_mask:0xf bank_mask:0xf// 00000001059C: 0BF534FA FF00AAFE
	v_mul_f32_dpp v251, v254, v155 quad_perm:[3,3,3,3] row_mask:0xf bank_mask:0xf// 0000000105A4: 0BF736FA FF00FFFE
	v_mul_f32_dpp v252, v255, v156 quad_perm:[0,0,0,0] row_mask:0xf bank_mask:0xf// 0000000105AC: 0BF938FA FF0000FF
	v_mul_f32_dpp v253, v255, v157 quad_perm:[1,1,1,1] row_mask:0xf bank_mask:0xf// 0000000105B4: 0BFB3AFA FF0055FF
	v_mul_f32_dpp v254, v255, v158 quad_perm:[2,2,2,2] row_mask:0xf bank_mask:0xf// 0000000105BC: 0BFD3CFA FF00AAFF
	v_mul_f32_dpp v255, v255, v159 quad_perm:[3,3,3,3] row_mask:0xf bank_mask:0xf// 0000000105C4: 0BFF3EFA FF00FFFF
	v_mov_b32_e32 v62, 0x358637bd                              // 0000000105CC: 7E7C02FF 358637BD
	v_max3_f32 v62, |v240|, |v241|, v62                        // 0000000105D4: D1D3033E 04FBE3F0
	v_max3_f32 v62, |v242|, |v243|, v62                        // 0000000105DC: D1D3033E 04FBE7F2
	v_max3_f32 v62, |v244|, |v245|, v62                        // 0000000105E4: D1D3033E 04FBEBF4
	v_max3_f32 v62, |v246|, |v247|, v62                        // 0000000105EC: D1D3033E 04FBEFF6
	v_max3_f32 v62, |v248|, |v249|, v62                        // 0000000105F4: D1D3033E 04FBF3F8
	v_max3_f32 v62, |v250|, |v251|, v62                        // 0000000105FC: D1D3033E 04FBF7FA
	v_max3_f32 v62, |v252|, |v253|, v62                        // 000000010604: D1D3033E 04FBFBFC
	v_max3_f32 v62, |v254|, |v255|, v62                        // 00000001060C: D1D3033E 04FBFFFE
	ds_write_b32 v11, v62 offset:20992                         // 000000010614: D81A5200 00003E0B
	v_sub_f32_e32 v64, v15, v18                                // 00000001061C: 0480250F
	v_cndmask_b32_e64 v64, v64, 0, s[40:41]                    // 000000010620: D1000040 00A10140
	v_mov_b32_e32 v15, v18                                     // 000000010628: 7E1E0312
	v_mul_f32_e32 v64, s64, v64                                // 00000001062C: 0A808040
	v_exp_f32_e32 v64, v64                                     // 000000010630: 7E804140
	s_waitcnt lgkmcnt(0)                                       // 000000010634: BF8CC07F
	s_barrier                                                  // 000000010638: BF8A0000
	ds_read_b32 v80, v10 offset:20992                          // 00000001063C: D86C5200 5000000A
	ds_read_b32 v81, v10 offset:21056                          // 000000010644: D86C5240 5100000A
	ds_read_b32 v82, v10 offset:21120                          // 00000001064C: D86C5280 5200000A
	ds_read_b32 v83, v10 offset:21184                          // 000000010654: D86C52C0 5300000A
	ds_read_b32 v84, v10 offset:21248                          // 00000001065C: D86C5300 5400000A
	ds_read_b32 v85, v10 offset:21312                          // 000000010664: D86C5340 5500000A
	ds_read_b32 v86, v10 offset:21376                          // 00000001066C: D86C5380 5600000A
	ds_read_b32 v87, v10 offset:21440                          // 000000010674: D86C53C0 5700000A
	ds_read_b32 v88, v10 offset:21504                          // 00000001067C: D86C5400 5800000A
	ds_read_b32 v89, v10 offset:21568                          // 000000010684: D86C5440 5900000A
	ds_read_b32 v90, v10 offset:21632                          // 00000001068C: D86C5480 5A00000A
	ds_read_b32 v91, v10 offset:21696                          // 000000010694: D86C54C0 5B00000A
	ds_read_b32 v92, v10 offset:21760                          // 00000001069C: D86C5500 5C00000A
	ds_read_b32 v93, v10 offset:21824                          // 0000000106A4: D86C5540 5D00000A
	ds_read_b32 v94, v10 offset:21888                          // 0000000106AC: D86C5580 5E00000A
	ds_read_b32 v95, v10 offset:21952                          // 0000000106B4: D86C55C0 5F00000A
	v_mul_f32_e32 v48, v64, v48                                // 0000000106BC: 0A606140
	v_mov_b32_e32 v18, v144                                    // 0000000106C0: 7E240390
	v_add_f32_e32 v18, v145, v18                               // 0000000106C4: 02242591
	v_add_f32_e32 v18, v146, v18                               // 0000000106C8: 02242592
	v_add_f32_e32 v18, v147, v18                               // 0000000106CC: 02242593
	v_add_f32_e32 v18, v148, v18                               // 0000000106D0: 02242594
	v_add_f32_e32 v18, v149, v18                               // 0000000106D4: 02242595
	v_add_f32_e32 v18, v150, v18                               // 0000000106D8: 02242596
	v_add_f32_e32 v18, v151, v18                               // 0000000106DC: 02242597
	v_add_f32_e32 v18, v152, v18                               // 0000000106E0: 02242598
	v_add_f32_e32 v18, v153, v18                               // 0000000106E4: 02242599
	v_add_f32_e32 v18, v154, v18                               // 0000000106E8: 0224259A
	v_add_f32_e32 v18, v155, v18                               // 0000000106EC: 0224259B
	v_add_f32_e32 v18, v156, v18                               // 0000000106F0: 0224259C
	v_add_f32_e32 v18, v157, v18                               // 0000000106F4: 0224259D
	v_add_f32_e32 v18, v158, v18                               // 0000000106F8: 0224259E
	v_add_f32_e32 v18, v159, v18                               // 0000000106FC: 0224259F
	v_add_f32_e32 v48, v18, v48                                // 000000010700: 02606112
	s_waitcnt lgkmcnt(0)                                       // 000000010704: BF8CC07F
	v_max3_f32 v62, |v80|, |v81|, v62                          // 000000010708: D1D3033E 04FAA350
	v_max3_f32 v62, |v82|, |v83|, v62                          // 000000010710: D1D3033E 04FAA752
	v_max3_f32 v62, |v84|, |v85|, v62                          // 000000010718: D1D3033E 04FAAB54
	v_max3_f32 v62, |v86|, |v87|, v62                          // 000000010720: D1D3033E 04FAAF56
	v_max3_f32 v62, |v88|, |v89|, v62                          // 000000010728: D1D3033E 04FAB358
	v_max3_f32 v62, |v90|, |v91|, v62                          // 000000010730: D1D3033E 04FAB75A
	v_max3_f32 v62, |v92|, |v93|, v62                          // 000000010738: D1D3033E 04FABB5C
	v_max3_f32 v62, |v94|, |v95|, v62                          // 000000010740: D1D3033E 04FABF5E
	s_nop 2                                                    // 000000010748: BF800002
	v_rcp_f32_e32 v62, v62                                     // 00000001074C: 7E7C453E
	s_nop 1                                                    // 000000010750: BF800001
	v_mul_f32_e32 v62, 0x42fe0000, v62                         // 000000010754: 0A7C7CFF 42FE0000
	v_mul_f32_e32 v144, v62, v240                              // 00000001075C: 0B21E13E
	v_mul_f32_e32 v145, v62, v241                              // 000000010760: 0B23E33E
	v_mul_f32_e32 v146, v62, v242                              // 000000010764: 0B25E53E
	v_mul_f32_e32 v147, v62, v243                              // 000000010768: 0B27E73E
	v_mul_f32_e32 v148, v62, v244                              // 00000001076C: 0B29E93E
	v_mul_f32_e32 v149, v62, v245                              // 000000010770: 0B2BEB3E
	v_mul_f32_e32 v150, v62, v246                              // 000000010774: 0B2DED3E
	v_mul_f32_e32 v151, v62, v247                              // 000000010778: 0B2FEF3E
	v_mul_f32_e32 v152, v62, v248                              // 00000001077C: 0B31F13E
	v_mul_f32_e32 v153, v62, v249                              // 000000010780: 0B33F33E
	v_mul_f32_e32 v154, v62, v250                              // 000000010784: 0B35F53E
	v_mul_f32_e32 v155, v62, v251                              // 000000010788: 0B37F73E
	v_mul_f32_e32 v156, v62, v252                              // 00000001078C: 0B39F93E
	v_mul_f32_e32 v157, v62, v253                              // 000000010790: 0B3BFB3E
	v_mul_f32_e32 v158, v62, v254                              // 000000010794: 0B3DFD3E
	v_mul_f32_e32 v159, v62, v255                              // 000000010798: 0B3FFF3E
	v_cvt_i32_f32_e32 v144, v144                               // 00000001079C: 7F201190
	v_cvt_i32_f32_e32 v145, v145                               // 0000000107A0: 7F221191
	v_cvt_i32_f32_e32 v146, v146                               // 0000000107A4: 7F241192
	v_cvt_i32_f32_e32 v147, v147                               // 0000000107A8: 7F261193
	v_cvt_i32_f32_e32 v148, v148                               // 0000000107AC: 7F281194
	v_cvt_i32_f32_e32 v149, v149                               // 0000000107B0: 7F2A1195
	v_cvt_i32_f32_e32 v150, v150                               // 0000000107B4: 7F2C1196
	v_cvt_i32_f32_e32 v151, v151                               // 0000000107B8: 7F2E1197
	v_cvt_i32_f32_e32 v152, v152                               // 0000000107BC: 7F301198
	v_cvt_i32_f32_e32 v153, v153                               // 0000000107C0: 7F321199
	v_cvt_i32_f32_e32 v154, v154                               // 0000000107C4: 7F34119A
	v_cvt_i32_f32_e32 v155, v155                               // 0000000107C8: 7F36119B
	v_cvt_i32_f32_e32 v156, v156                               // 0000000107CC: 7F38119C
	v_cvt_i32_f32_e32 v157, v157                               // 0000000107D0: 7F3A119D
	v_cvt_i32_f32_e32 v158, v158                               // 0000000107D4: 7F3C119E
	v_cvt_i32_f32_e32 v159, v159                               // 0000000107D8: 7F3E119F
	v_perm_b32 v144, v145, v144, s53                           // 0000000107DC: D1ED0090 00D72191
	v_perm_b32 v144, v146, v144, s54                           // 0000000107E4: D1ED0090 00DB2192
	v_perm_b32 v144, v147, v144, s55                           // 0000000107EC: D1ED0090 00DF2193
	v_perm_b32 v145, v149, v148, s53                           // 0000000107F4: D1ED0091 00D72995
	v_perm_b32 v145, v150, v145, s54                           // 0000000107FC: D1ED0091 00DB2396
	v_perm_b32 v145, v151, v145, s55                           // 000000010804: D1ED0091 00DF2397
	v_perm_b32 v146, v153, v152, s53                           // 00000001080C: D1ED0092 00D73199
	v_perm_b32 v146, v154, v146, s54                           // 000000010814: D1ED0092 00DB259A
	v_perm_b32 v146, v155, v146, s55                           // 00000001081C: D1ED0092 00DF259B
	v_perm_b32 v147, v157, v156, s53                           // 000000010824: D1ED0093 00D7399D
	v_perm_b32 v147, v158, v147, s54                           // 00000001082C: D1ED0093 00DB279E
	v_perm_b32 v147, v159, v147, s55                           // 000000010834: D1ED0093 00DF279F
	ds_write_b32 v13, v144 offset:29184                        // 00000001083C: D81A7200 0000900D
	ds_write_b32 v13, v145 offset:30208                        // 000000010844: D81A7600 0000910D
	ds_write_b32 v13, v146 offset:31232                        // 00000001084C: D81A7A00 0000920D
	ds_write_b32 v13, v147 offset:32256                        // 000000010854: D81A7E00 0000930D
	v_add_f32_e32 v232, v232, v200                             // 00000001085C: 03D191E8
	v_add_f32_e32 v233, v233, v201                             // 000000010860: 03D393E9
	v_add_f32_e32 v234, v234, v202                             // 000000010864: 03D595EA
	v_add_f32_e32 v235, v235, v203                             // 000000010868: 03D797EB
	v_add_f32_e32 v236, v236, v204                             // 00000001086C: 03D999EC
	v_add_f32_e32 v237, v237, v205                             // 000000010870: 03DB9BED
	v_add_f32_e32 v238, v238, v206                             // 000000010874: 03DD9DEE
	v_add_f32_e32 v239, v239, v207                             // 000000010878: 03DF9FEF
	v_rcp_f32_e32 v59, v62                                     // 00000001087C: 7E76453E
	s_waitcnt lgkmcnt(0)                                       // 000000010880: BF8CC07F
	s_barrier                                                  // 000000010884: BF8A0000
	ds_read_b64 v[144:145], v12 offset:29184                   // 000000010888: D8EC7200 9000000C
	ds_read_b64 v[146:147], v12 offset:29312                   // 000000010890: D8EC7280 9200000C
	ds_read_b64 v[148:149], v12 offset:30208                   // 000000010898: D8EC7600 9400000C
	ds_read_b64 v[150:151], v12 offset:30336                   // 0000000108A0: D8EC7680 9600000C
	ds_read_b64 v[152:153], v12 offset:31232                   // 0000000108A8: D8EC7A00 9800000C
	ds_read_b64 v[154:155], v12 offset:31360                   // 0000000108B0: D8EC7A80 9A00000C
	ds_read_b64 v[156:157], v12 offset:32256                   // 0000000108B8: D8EC7E00 9C00000C
	ds_read_b64 v[158:159], v12 offset:32384                   // 0000000108C0: D8EC7E80 9E00000C
	s_waitcnt vmcnt(0)                                         // 0000000108C8: BF8C0F70
	s_barrier                                                  // 0000000108CC: BF8A0000
	v_mfma_i32_16x16x32_i8 v[192:195], a[64:65], v[128:129], 0 // 0000000108D0: D3D700C0 0A030140
	v_mfma_i32_16x16x32_i8 v[192:195], a[66:67], v[130:131], v[192:195]// 0000000108D8: D3D700C0 0F030542
	v_mfma_i32_16x16x32_i8 v[192:195], a[68:69], v[132:133], v[192:195]// 0000000108E0: D3D700C0 0F030944
	v_mfma_i32_16x16x32_i8 v[192:195], a[70:71], v[134:135], v[192:195]// 0000000108E8: D3D700C0 0F030D46
	v_mfma_i32_16x16x32_i8 v[192:195], a[72:73], v[136:137], v[192:195]// 0000000108F0: D3D700C0 0F031148
	v_mfma_i32_16x16x32_i8 v[192:195], a[74:75], v[138:139], v[192:195]// 0000000108F8: D3D700C0 0F03154A
	v_mfma_i32_16x16x32_i8 v[192:195], a[76:77], v[140:141], v[192:195]// 000000010900: D3D700C0 0F03194C
	v_mfma_i32_16x16x32_i8 v[192:195], a[78:79], v[142:143], v[192:195]// 000000010908: D3D700C0 0F031D4E
	v_mfma_i32_16x16x32_i8 v[196:199], a[80:81], v[128:129], 0 // 000000010910: D3D700C4 0A030150
	v_mfma_i32_16x16x32_i8 v[196:199], a[82:83], v[130:131], v[196:199]// 000000010918: D3D700C4 0F130552
	v_mfma_i32_16x16x32_i8 v[196:199], a[84:85], v[132:133], v[196:199]// 000000010920: D3D700C4 0F130954
	v_mfma_i32_16x16x32_i8 v[196:199], a[86:87], v[134:135], v[196:199]// 000000010928: D3D700C4 0F130D56
	v_mfma_i32_16x16x32_i8 v[196:199], a[88:89], v[136:137], v[196:199]// 000000010930: D3D700C4 0F131158
	v_mfma_i32_16x16x32_i8 v[196:199], a[90:91], v[138:139], v[196:199]// 000000010938: D3D700C4 0F13155A
	v_mfma_i32_16x16x32_i8 v[196:199], a[92:93], v[140:141], v[196:199]// 000000010940: D3D700C4 0F13195C
	v_mfma_i32_16x16x32_i8 v[196:199], a[94:95], v[142:143], v[196:199]// 000000010948: D3D700C4 0F131D5E
	v_mfma_i32_16x16x32_i8 v[200:203], a[64:65], v[144:145], 0 // 000000010950: D3D700C8 0A032140
	v_mfma_i32_16x16x32_i8 v[200:203], a[66:67], v[146:147], v[200:203]// 000000010958: D3D700C8 0F232542
	v_mfma_i32_16x16x32_i8 v[200:203], a[68:69], v[148:149], v[200:203]// 000000010960: D3D700C8 0F232944
	v_mfma_i32_16x16x32_i8 v[200:203], a[70:71], v[150:151], v[200:203]// 000000010968: D3D700C8 0F232D46
	v_mfma_i32_16x16x32_i8 v[200:203], a[72:73], v[152:153], v[200:203]// 000000010970: D3D700C8 0F233148
	v_mfma_i32_16x16x32_i8 v[200:203], a[74:75], v[154:155], v[200:203]// 000000010978: D3D700C8 0F23354A
	v_mfma_i32_16x16x32_i8 v[200:203], a[76:77], v[156:157], v[200:203]// 000000010980: D3D700C8 0F23394C
	v_mfma_i32_16x16x32_i8 v[200:203], a[78:79], v[158:159], v[200:203]// 000000010988: D3D700C8 0F233D4E
	v_mfma_i32_16x16x32_i8 v[204:207], a[80:81], v[144:145], 0 // 000000010990: D3D700CC 0A032150
	v_mfma_i32_16x16x32_i8 v[204:207], a[82:83], v[146:147], v[204:207]// 000000010998: D3D700CC 0F332552
	v_mfma_i32_16x16x32_i8 v[204:207], a[84:85], v[148:149], v[204:207]// 0000000109A0: D3D700CC 0F332954
	v_mfma_i32_16x16x32_i8 v[204:207], a[86:87], v[150:151], v[204:207]// 0000000109A8: D3D700CC 0F332D56
	v_mfma_i32_16x16x32_i8 v[204:207], a[88:89], v[152:153], v[204:207]// 0000000109B0: D3D700CC 0F333158
	v_mfma_i32_16x16x32_i8 v[204:207], a[90:91], v[154:155], v[204:207]// 0000000109B8: D3D700CC 0F33355A
	v_mfma_i32_16x16x32_i8 v[204:207], a[92:93], v[156:157], v[204:207]// 0000000109C0: D3D700CC 0F33395C
	v_mfma_i32_16x16x32_i8 v[204:207], a[94:95], v[158:159], v[204:207]// 0000000109C8: D3D700CC 0F333D5E
	s_nop 4                                                    // 0000000109D0: BF800004
	s_branch label_3F30                                        // 0000000109D4: BF82053A

00000000000109d8 <label_39F6>:
	s_waitcnt vmcnt(8) lgkmcnt(0)                              // 0000000109D8: BF8C0078
	s_barrier                                                  // 0000000109DC: BF8A0000
	v_mfma_i32_16x16x32_i8 v[128:131], a[32:33], v[96:97], 0   // 0000000109E0: D3D70080 0A02C120
	v_mfma_i32_16x16x32_i8 v[128:131], a[34:35], v[98:99], v[128:131]// 0000000109E8: D3D70080 0E02C522
	v_mfma_i32_16x16x32_i8 v[128:131], a[36:37], v[100:101], v[128:131]// 0000000109F0: D3D70080 0E02C924
	v_mfma_i32_16x16x32_i8 v[128:131], a[38:39], v[102:103], v[128:131]// 0000000109F8: D3D70080 0E02CD26
	v_mfma_i32_16x16x32_i8 v[132:135], a[40:41], v[96:97], 0   // 000000010A00: D3D70084 0A02C128
	v_mfma_i32_16x16x32_i8 v[132:135], a[42:43], v[98:99], v[132:135]// 000000010A08: D3D70084 0E12C52A
	v_mfma_i32_16x16x32_i8 v[132:135], a[44:45], v[100:101], v[132:135]// 000000010A10: D3D70084 0E12C92C
	v_mfma_i32_16x16x32_i8 v[132:135], a[46:47], v[102:103], v[132:135]// 000000010A18: D3D70084 0E12CD2E
	v_mfma_i32_16x16x32_i8 v[136:139], a[48:49], v[96:97], 0   // 000000010A20: D3D70088 0A02C130
	v_mfma_i32_16x16x32_i8 v[136:139], a[50:51], v[98:99], v[136:139]// 000000010A28: D3D70088 0E22C532
	v_mfma_i32_16x16x32_i8 v[136:139], a[52:53], v[100:101], v[136:139]// 000000010A30: D3D70088 0E22C934
	v_mfma_i32_16x16x32_i8 v[136:139], a[54:55], v[102:103], v[136:139]// 000000010A38: D3D70088 0E22CD36
	v_mfma_i32_16x16x32_i8 v[140:143], a[56:57], v[96:97], 0   // 000000010A40: D3D7008C 0A02C138
	v_mfma_i32_16x16x32_i8 v[140:143], a[58:59], v[98:99], v[140:143]// 000000010A48: D3D7008C 0E32C53A
	v_mfma_i32_16x16x32_i8 v[140:143], a[60:61], v[100:101], v[140:143]// 000000010A50: D3D7008C 0E32C93C
	v_mfma_i32_16x16x32_i8 v[140:143], a[62:63], v[102:103], v[140:143]// 000000010A58: D3D7008C 0E32CD3E
	v_mfma_i32_16x16x32_i8 v[144:147], a[32:33], v[104:105], 0 // 000000010A60: D3D70090 0A02D120
	v_mfma_i32_16x16x32_i8 v[144:147], a[34:35], v[106:107], v[144:147]// 000000010A68: D3D70090 0E42D522
	v_mfma_i32_16x16x32_i8 v[144:147], a[36:37], v[108:109], v[144:147]// 000000010A70: D3D70090 0E42D924
	v_mfma_i32_16x16x32_i8 v[144:147], a[38:39], v[110:111], v[144:147]// 000000010A78: D3D70090 0E42DD26
	v_mfma_i32_16x16x32_i8 v[148:151], a[40:41], v[104:105], 0 // 000000010A80: D3D70094 0A02D128
	v_mfma_i32_16x16x32_i8 v[148:151], a[42:43], v[106:107], v[148:151]// 000000010A88: D3D70094 0E52D52A
	v_mfma_i32_16x16x32_i8 v[148:151], a[44:45], v[108:109], v[148:151]// 000000010A90: D3D70094 0E52D92C
	v_mfma_i32_16x16x32_i8 v[148:151], a[46:47], v[110:111], v[148:151]// 000000010A98: D3D70094 0E52DD2E
	v_mfma_i32_16x16x32_i8 v[152:155], a[48:49], v[104:105], 0 // 000000010AA0: D3D70098 0A02D130
	v_mfma_i32_16x16x32_i8 v[152:155], a[50:51], v[106:107], v[152:155]// 000000010AA8: D3D70098 0E62D532
	v_mfma_i32_16x16x32_i8 v[152:155], a[52:53], v[108:109], v[152:155]// 000000010AB0: D3D70098 0E62D934
	v_mfma_i32_16x16x32_i8 v[152:155], a[54:55], v[110:111], v[152:155]// 000000010AB8: D3D70098 0E62DD36
	v_mfma_i32_16x16x32_i8 v[156:159], a[56:57], v[104:105], 0 // 000000010AC0: D3D7009C 0A02D138
	v_mfma_i32_16x16x32_i8 v[156:159], a[58:59], v[106:107], v[156:159]// 000000010AC8: D3D7009C 0E72D53A
	v_mfma_i32_16x16x32_i8 v[156:159], a[60:61], v[108:109], v[156:159]// 000000010AD0: D3D7009C 0E72D93C
	v_mfma_i32_16x16x32_i8 v[156:159], a[62:63], v[110:111], v[156:159]// 000000010AD8: D3D7009C 0E72DD3E
	v_mov_b32_dpp v41, v53 row_shr:4 row_mask:0xf bank_mask:0xf// 000000010AE0: 7E5202FA FF011435
	v_mov_b32_dpp v42, v53 row_shl:4 row_mask:0xf bank_mask:0xf// 000000010AE8: 7E5402FA FF010435
	v_cndmask_b32_e64 v248, v53, v41, s[44:45]                 // 000000010AF0: D10000F8 00B25335
	v_cndmask_b32_e64 v249, v42, v53, s[44:45]                 // 000000010AF8: D10000F9 00B26B2A
	v_mov_b32_dpp v41, v248 row_shr:8 row_mask:0xf bank_mask:0xf// 000000010B00: 7E5202FA FF0118F8
	v_mov_b32_dpp v42, v248 row_shl:8 row_mask:0xf bank_mask:0xf// 000000010B08: 7E5402FA FF0108F8
	v_mov_b32_dpp v43, v249 row_shr:8 row_mask:0xf bank_mask:0xf// 000000010B10: 7E5602FA FF0118F9
	v_mov_b32_dpp v44, v249 row_shl:8 row_mask:0xf bank_mask:0xf// 000000010B18: 7E5802FA FF0108F9
	v_mov_b32_e32 v45, v248                                    // 000000010B20: 7E5A03F8
	v_mov_b32_e32 v46, v249                                    // 000000010B24: 7E5C03F9
	v_cndmask_b32_e64 v248, v45, v41, s[42:43]                 // 000000010B28: D10000F8 00AA532D
	v_cndmask_b32_e64 v250, v45, v42, s[78:79]                 // 000000010B30: D10000FA 013A552D
	v_cndmask_b32_e64 v249, v46, v43, s[42:43]                 // 000000010B38: D10000F9 00AA572E
	v_cndmask_b32_e64 v251, v46, v44, s[78:79]                 // 000000010B40: D10000FB 013A592E
	v_mov_b32_dpp v41, v73 row_shr:4 row_mask:0xf bank_mask:0xf// 000000010B48: 7E5202FA FF011449
	v_mov_b32_dpp v42, v73 row_shl:4 row_mask:0xf bank_mask:0xf// 000000010B50: 7E5402FA FF010449
	v_cndmask_b32_e64 v252, v73, v41, s[44:45]                 // 000000010B58: D10000FC 00B25349
	v_cndmask_b32_e64 v253, v42, v73, s[44:45]                 // 000000010B60: D10000FD 00B2932A
	v_mov_b32_dpp v41, v252 row_shr:8 row_mask:0xf bank_mask:0xf// 000000010B68: 7E5202FA FF0118FC
	v_mov_b32_dpp v42, v252 row_shl:8 row_mask:0xf bank_mask:0xf// 000000010B70: 7E5402FA FF0108FC
	v_mov_b32_dpp v43, v253 row_shr:8 row_mask:0xf bank_mask:0xf// 000000010B78: 7E5602FA FF0118FD
	v_mov_b32_dpp v44, v253 row_shl:8 row_mask:0xf bank_mask:0xf// 000000010B80: 7E5802FA FF0108FD
	v_mov_b32_e32 v45, v252                                    // 000000010B88: 7E5A03FC
	v_mov_b32_e32 v46, v253                                    // 000000010B8C: 7E5C03FD
	v_cndmask_b32_e64 v252, v45, v41, s[42:43]                 // 000000010B90: D10000FC 00AA532D
	v_cndmask_b32_e64 v254, v45, v42, s[78:79]                 // 000000010B98: D10000FE 013A552D
	v_cndmask_b32_e64 v253, v46, v43, s[42:43]                 // 000000010BA0: D10000FD 00AA572E
	v_cndmask_b32_e64 v255, v46, v44, s[78:79]                 // 000000010BA8: D10000FF 013A592E
	v_cvt_f32_i32_e32 v128, v128                               // 000000010BB0: 7F000B80
	v_cvt_f32_i32_e32 v129, v129                               // 000000010BB4: 7F020B81
	v_cvt_f32_i32_e32 v130, v130                               // 000000010BB8: 7F040B82
	v_cvt_f32_i32_e32 v131, v131                               // 000000010BBC: 7F060B83
	v_cvt_f32_i32_e32 v132, v132                               // 000000010BC0: 7F080B84
	v_cvt_f32_i32_e32 v133, v133                               // 000000010BC4: 7F0A0B85
	v_cvt_f32_i32_e32 v134, v134                               // 000000010BC8: 7F0C0B86
	v_cvt_f32_i32_e32 v135, v135                               // 000000010BCC: 7F0E0B87
	v_cvt_f32_i32_e32 v136, v136                               // 000000010BD0: 7F100B88
	v_cvt_f32_i32_e32 v137, v137                               // 000000010BD4: 7F120B89
	v_cvt_f32_i32_e32 v138, v138                               // 000000010BD8: 7F140B8A
	v_cvt_f32_i32_e32 v139, v139                               // 000000010BDC: 7F160B8B
	v_cvt_f32_i32_e32 v140, v140                               // 000000010BE0: 7F180B8C
	v_cvt_f32_i32_e32 v141, v141                               // 000000010BE4: 7F1A0B8D
	v_cvt_f32_i32_e32 v142, v142                               // 000000010BE8: 7F1C0B8E
	v_cvt_f32_i32_e32 v143, v143                               // 000000010BEC: 7F1E0B8F
	v_mul_f32_e32 v128, v54, v128                              // 000000010BF0: 0B010136
	v_mul_f32_e32 v129, v54, v129                              // 000000010BF4: 0B030336
	v_mul_f32_e32 v130, v54, v130                              // 000000010BF8: 0B050536
	v_mul_f32_e32 v131, v54, v131                              // 000000010BFC: 0B070736
	v_mul_f32_e32 v132, v54, v132                              // 000000010C00: 0B090936
	v_mul_f32_e32 v133, v54, v133                              // 000000010C04: 0B0B0B36
	v_mul_f32_e32 v134, v54, v134                              // 000000010C08: 0B0D0D36
	v_mul_f32_e32 v135, v54, v135                              // 000000010C0C: 0B0F0F36
	v_mul_f32_e32 v136, v54, v136                              // 000000010C10: 0B111136
	v_mul_f32_e32 v137, v54, v137                              // 000000010C14: 0B131336
	v_mul_f32_e32 v138, v54, v138                              // 000000010C18: 0B151536
	v_mul_f32_e32 v139, v54, v139                              // 000000010C1C: 0B171736
	v_mul_f32_e32 v140, v54, v140                              // 000000010C20: 0B191936
	v_mul_f32_e32 v141, v54, v141                              // 000000010C24: 0B1B1B36
	v_mul_f32_e32 v142, v54, v142                              // 000000010C28: 0B1D1D36
	v_mul_f32_e32 v143, v54, v143                              // 000000010C2C: 0B1F1F36
	v_mul_f32_dpp v128, v248, v128 quad_perm:[0,0,0,0] row_mask:0xf bank_mask:0xf// 000000010C30: 0B0100FA FF0000F8
	v_mul_f32_dpp v129, v248, v129 quad_perm:[1,1,1,1] row_mask:0xf bank_mask:0xf// 000000010C38: 0B0302FA FF0055F8
	v_mul_f32_dpp v130, v248, v130 quad_perm:[2,2,2,2] row_mask:0xf bank_mask:0xf// 000000010C40: 0B0504FA FF00AAF8
	v_mul_f32_dpp v131, v248, v131 quad_perm:[3,3,3,3] row_mask:0xf bank_mask:0xf// 000000010C48: 0B0706FA FF00FFF8
	v_mul_f32_dpp v132, v249, v132 quad_perm:[0,0,0,0] row_mask:0xf bank_mask:0xf// 000000010C50: 0B0908FA FF0000F9
	v_mul_f32_dpp v133, v249, v133 quad_perm:[1,1,1,1] row_mask:0xf bank_mask:0xf// 000000010C58: 0B0B0AFA FF0055F9
	v_mul_f32_dpp v134, v249, v134 quad_perm:[2,2,2,2] row_mask:0xf bank_mask:0xf// 000000010C60: 0B0D0CFA FF00AAF9
	v_mul_f32_dpp v135, v249, v135 quad_perm:[3,3,3,3] row_mask:0xf bank_mask:0xf// 000000010C68: 0B0F0EFA FF00FFF9
	v_mul_f32_dpp v136, v250, v136 quad_perm:[0,0,0,0] row_mask:0xf bank_mask:0xf// 000000010C70: 0B1110FA FF0000FA
	v_mul_f32_dpp v137, v250, v137 quad_perm:[1,1,1,1] row_mask:0xf bank_mask:0xf// 000000010C78: 0B1312FA FF0055FA
	v_mul_f32_dpp v138, v250, v138 quad_perm:[2,2,2,2] row_mask:0xf bank_mask:0xf// 000000010C80: 0B1514FA FF00AAFA
	v_mul_f32_dpp v139, v250, v139 quad_perm:[3,3,3,3] row_mask:0xf bank_mask:0xf// 000000010C88: 0B1716FA FF00FFFA
	v_mul_f32_dpp v140, v251, v140 quad_perm:[0,0,0,0] row_mask:0xf bank_mask:0xf// 000000010C90: 0B1918FA FF0000FB
	v_mul_f32_dpp v141, v251, v141 quad_perm:[1,1,1,1] row_mask:0xf bank_mask:0xf// 000000010C98: 0B1B1AFA FF0055FB
	v_mul_f32_dpp v142, v251, v142 quad_perm:[2,2,2,2] row_mask:0xf bank_mask:0xf// 000000010CA0: 0B1D1CFA FF00AAFB
	v_mul_f32_dpp v143, v251, v143 quad_perm:[3,3,3,3] row_mask:0xf bank_mask:0xf// 000000010CA8: 0B1F1EFA FF00FFFB
	s_and_b32 s60, s72, 0xff                                   // 000000010CB0: 863CFF48 000000FF
	v_mov_b32_e32 v42, s60                                     // 000000010CB8: 7E54023C
	v_lshrrev_b32_e32 v240, 4, v0                              // 000000010CBC: 21E00084
	v_mul_i32_i24_e32 v240, 4, v240                            // 000000010CC0: 0DE1E084
	s_mul_i32 s60, s7, 16                                      // 000000010CC4: 923C9007
	v_add_u32_e32 v240, s60, v240                              // 000000010CC8: 69E1E03C
	v_add_u32_e32 v241, 1, v240                                // 000000010CCC: 69E3E081
	v_add_u32_e32 v242, 2, v240                                // 000000010CD0: 69E5E082
	v_add_u32_e32 v243, 3, v240                                // 000000010CD4: 69E7E083
	v_mov_b32_e32 v41, 0xff800000                              // 000000010CD8: 7E5202FF FF800000
	v_cmp_lt_u32_e64 s[40:41], v240, v42                       // 000000010CE0: D0C90028 000255F0
	v_add_u32_e32 v240, 64, v240                               // 000000010CE8: 69E1E0C0
	s_nop 0                                                    // 000000010CEC: BF800000
	v_cndmask_b32_e64 v128, v41, v128, s[40:41]                // 000000010CF0: D1000080 00A30129
	v_cmp_lt_u32_e64 s[40:41], v241, v42                       // 000000010CF8: D0C90028 000255F1
	v_add_u32_e32 v241, 64, v241                               // 000000010D00: 69E3E2C0
	s_nop 0                                                    // 000000010D04: BF800000
	v_cndmask_b32_e64 v129, v41, v129, s[40:41]                // 000000010D08: D1000081 00A30329
	v_cmp_lt_u32_e64 s[40:41], v242, v42                       // 000000010D10: D0C90028 000255F2
	v_add_u32_e32 v242, 64, v242                               // 000000010D18: 69E5E4C0
	s_nop 0                                                    // 000000010D1C: BF800000
	v_cndmask_b32_e64 v130, v41, v130, s[40:41]                // 000000010D20: D1000082 00A30529
	v_cmp_lt_u32_e64 s[40:41], v243, v42                       // 000000010D28: D0C90028 000255F3
	v_add_u32_e32 v243, 64, v243                               // 000000010D30: 69E7E6C0
	s_nop 0                                                    // 000000010D34: BF800000
	v_cndmask_b32_e64 v131, v41, v131, s[40:41]                // 000000010D38: D1000083 00A30729
	v_cmp_lt_u32_e64 s[40:41], v240, v42                       // 000000010D40: D0C90028 000255F0
	v_add_u32_e32 v240, 64, v240                               // 000000010D48: 69E1E0C0
	s_nop 0                                                    // 000000010D4C: BF800000
	v_cndmask_b32_e64 v132, v41, v132, s[40:41]                // 000000010D50: D1000084 00A30929
	v_cmp_lt_u32_e64 s[40:41], v241, v42                       // 000000010D58: D0C90028 000255F1
	v_add_u32_e32 v241, 64, v241                               // 000000010D60: 69E3E2C0
	s_nop 0                                                    // 000000010D64: BF800000
	v_cndmask_b32_e64 v133, v41, v133, s[40:41]                // 000000010D68: D1000085 00A30B29
	v_cmp_lt_u32_e64 s[40:41], v242, v42                       // 000000010D70: D0C90028 000255F2
	v_add_u32_e32 v242, 64, v242                               // 000000010D78: 69E5E4C0
	s_nop 0                                                    // 000000010D7C: BF800000
	v_cndmask_b32_e64 v134, v41, v134, s[40:41]                // 000000010D80: D1000086 00A30D29
	v_cmp_lt_u32_e64 s[40:41], v243, v42                       // 000000010D88: D0C90028 000255F3
	v_add_u32_e32 v243, 64, v243                               // 000000010D90: 69E7E6C0
	s_nop 0                                                    // 000000010D94: BF800000
	v_cndmask_b32_e64 v135, v41, v135, s[40:41]                // 000000010D98: D1000087 00A30F29
	v_cmp_lt_u32_e64 s[40:41], v240, v42                       // 000000010DA0: D0C90028 000255F0
	v_add_u32_e32 v240, 64, v240                               // 000000010DA8: 69E1E0C0
	s_nop 0                                                    // 000000010DAC: BF800000
	v_cndmask_b32_e64 v136, v41, v136, s[40:41]                // 000000010DB0: D1000088 00A31129
	v_cmp_lt_u32_e64 s[40:41], v241, v42                       // 000000010DB8: D0C90028 000255F1
	v_add_u32_e32 v241, 64, v241                               // 000000010DC0: 69E3E2C0
	s_nop 0                                                    // 000000010DC4: BF800000
	v_cndmask_b32_e64 v137, v41, v137, s[40:41]                // 000000010DC8: D1000089 00A31329
	v_cmp_lt_u32_e64 s[40:41], v242, v42                       // 000000010DD0: D0C90028 000255F2
	v_add_u32_e32 v242, 64, v242                               // 000000010DD8: 69E5E4C0
	s_nop 0                                                    // 000000010DDC: BF800000
	v_cndmask_b32_e64 v138, v41, v138, s[40:41]                // 000000010DE0: D100008A 00A31529
	v_cmp_lt_u32_e64 s[40:41], v243, v42                       // 000000010DE8: D0C90028 000255F3
	v_add_u32_e32 v243, 64, v243                               // 000000010DF0: 69E7E6C0
	s_nop 0                                                    // 000000010DF4: BF800000
	v_cndmask_b32_e64 v139, v41, v139, s[40:41]                // 000000010DF8: D100008B 00A31729
	v_cmp_lt_u32_e64 s[40:41], v240, v42                       // 000000010E00: D0C90028 000255F0
	v_add_u32_e32 v240, 64, v240                               // 000000010E08: 69E1E0C0
	s_nop 0                                                    // 000000010E0C: BF800000
	v_cndmask_b32_e64 v140, v41, v140, s[40:41]                // 000000010E10: D100008C 00A31929
	v_cmp_lt_u32_e64 s[40:41], v241, v42                       // 000000010E18: D0C90028 000255F1
	v_add_u32_e32 v241, 64, v241                               // 000000010E20: 69E3E2C0
	s_nop 0                                                    // 000000010E24: BF800000
	v_cndmask_b32_e64 v141, v41, v141, s[40:41]                // 000000010E28: D100008D 00A31B29
	v_cmp_lt_u32_e64 s[40:41], v242, v42                       // 000000010E30: D0C90028 000255F2
	v_add_u32_e32 v242, 64, v242                               // 000000010E38: 69E5E4C0
	s_nop 0                                                    // 000000010E3C: BF800000
	v_cndmask_b32_e64 v142, v41, v142, s[40:41]                // 000000010E40: D100008E 00A31D29
	v_cmp_lt_u32_e64 s[40:41], v243, v42                       // 000000010E48: D0C90028 000255F3
	v_add_u32_e32 v243, 64, v243                               // 000000010E50: 69E7E6C0
	s_nop 0                                                    // 000000010E54: BF800000
	v_cndmask_b32_e64 v143, v41, v143, s[40:41]                // 000000010E58: D100008F 00A31F29
	v_mov_b32_e32 v62, v128                                    // 000000010E60: 7E7C0380
	v_max3_f32 v62, v128, v129, v62                            // 000000010E64: D1D3003E 04FB0380
	v_max3_f32 v62, v130, v131, v62                            // 000000010E6C: D1D3003E 04FB0782
	v_max3_f32 v62, v132, v133, v62                            // 000000010E74: D1D3003E 04FB0B84
	v_max3_f32 v62, v134, v135, v62                            // 000000010E7C: D1D3003E 04FB0F86
	v_max3_f32 v62, v136, v137, v62                            // 000000010E84: D1D3003E 04FB1388
	v_max3_f32 v62, v138, v139, v62                            // 000000010E8C: D1D3003E 04FB178A
	v_max3_f32 v62, v140, v141, v62                            // 000000010E94: D1D3003E 04FB1B8C
	v_max3_f32 v62, v142, v143, v62                            // 000000010E9C: D1D3003E 04FB1F8E
	ds_write_b32 v11, v62 offset:16896                         // 000000010EA4: D81A4200 00003E0B
	v_mul_u32_u24_dpp v41, v19, v68 row_newbcast:1 row_mask:0xf bank_mask:0xf// 000000010EAC: 105288FA FF015113
	v_mul_u32_u24_dpp v42, v19, v68 row_newbcast:5 row_mask:0xf bank_mask:0xf// 000000010EB4: 105488FA FF015513
	v_mul_u32_u24_dpp v43, v19, v68 row_newbcast:9 row_mask:0xf bank_mask:0xf// 000000010EBC: 105688FA FF015913
	v_mul_u32_u24_dpp v44, v19, v68 row_newbcast:13 row_mask:0xf bank_mask:0xf// 000000010EC4: 105888FA FF015D13
	v_add_u32_e32 v33, v41, v7                                 // 000000010ECC: 68420F29
	v_add_u32_e32 v34, v42, v7                                 // 000000010ED0: 68440F2A
	v_add_u32_e32 v35, v43, v7                                 // 000000010ED4: 68460F2B
	v_add_u32_e32 v36, v44, v7                                 // 000000010ED8: 68480F2C
	v_mul_f32_e32 v224, v63, v224                              // 000000010EDC: 0BC1C13F
	v_mul_f32_e32 v225, v63, v225                              // 000000010EE0: 0BC3C33F
	v_mul_f32_e32 v226, v63, v226                              // 000000010EE4: 0BC5C53F
	v_mul_f32_e32 v227, v63, v227                              // 000000010EE8: 0BC7C73F
	v_mul_f32_e32 v228, v63, v228                              // 000000010EEC: 0BC9C93F
	v_mul_f32_e32 v229, v63, v229                              // 000000010EF0: 0BCBCB3F
	v_mul_f32_e32 v230, v63, v230                              // 000000010EF4: 0BCDCD3F
	v_mul_f32_e32 v231, v63, v231                              // 000000010EF8: 0BCFCF3F
	s_waitcnt lgkmcnt(0)                                       // 000000010EFC: BF8CC07F
	s_barrier                                                  // 000000010F00: BF8A0000
	ds_read_b32 v80, v10 offset:16896                          // 000000010F04: D86C4200 5000000A
	ds_read_b32 v81, v10 offset:16960                          // 000000010F0C: D86C4240 5100000A
	ds_read_b32 v82, v10 offset:17024                          // 000000010F14: D86C4280 5200000A
	ds_read_b32 v83, v10 offset:17088                          // 000000010F1C: D86C42C0 5300000A
	ds_read_b32 v84, v10 offset:17152                          // 000000010F24: D86C4300 5400000A
	ds_read_b32 v85, v10 offset:17216                          // 000000010F2C: D86C4340 5500000A
	ds_read_b32 v86, v10 offset:17280                          // 000000010F34: D86C4380 5600000A
	ds_read_b32 v87, v10 offset:17344                          // 000000010F3C: D86C43C0 5700000A
	ds_read_b32 v88, v10 offset:17408                          // 000000010F44: D86C4400 5800000A
	ds_read_b32 v89, v10 offset:17472                          // 000000010F4C: D86C4440 5900000A
	ds_read_b32 v90, v10 offset:17536                          // 000000010F54: D86C4480 5A00000A
	ds_read_b32 v91, v10 offset:17600                          // 000000010F5C: D86C44C0 5B00000A
	ds_read_b32 v92, v10 offset:17664                          // 000000010F64: D86C4500 5C00000A
	ds_read_b32 v93, v10 offset:17728                          // 000000010F6C: D86C4540 5D00000A
	ds_read_b32 v94, v10 offset:17792                          // 000000010F74: D86C4580 5E00000A
	ds_read_b32 v95, v10 offset:17856                          // 000000010F7C: D86C45C0 5F00000A
	v_cvt_f32_i32_e32 v192, v192                               // 000000010F84: 7F800BC0
	v_cvt_f32_i32_e32 v193, v193                               // 000000010F88: 7F820BC1
	v_cvt_f32_i32_e32 v194, v194                               // 000000010F8C: 7F840BC2
	v_cvt_f32_i32_e32 v195, v195                               // 000000010F90: 7F860BC3
	v_cvt_f32_i32_e32 v196, v196                               // 000000010F94: 7F880BC4
	v_cvt_f32_i32_e32 v197, v197                               // 000000010F98: 7F8A0BC5
	v_cvt_f32_i32_e32 v198, v198                               // 000000010F9C: 7F8C0BC6
	v_cvt_f32_i32_e32 v199, v199                               // 000000010FA0: 7F8E0BC7
	v_mul_f32_e32 v192, v58, v192                              // 000000010FA4: 0B81813A
	v_mul_f32_e32 v193, v58, v193                              // 000000010FA8: 0B83833A
	v_mul_f32_e32 v194, v58, v194                              // 000000010FAC: 0B85853A
	v_mul_f32_e32 v195, v58, v195                              // 000000010FB0: 0B87873A
	v_mul_f32_e32 v196, v58, v196                              // 000000010FB4: 0B89893A
	v_mul_f32_e32 v197, v58, v197                              // 000000010FB8: 0B8B8B3A
	v_mul_f32_e32 v198, v58, v198                              // 000000010FBC: 0B8D8D3A
	v_mul_f32_e32 v199, v58, v199                              // 000000010FC0: 0B8F8F3A
	s_waitcnt lgkmcnt(0)                                       // 000000010FC4: BF8CC07F
	v_max3_f32 v62, v80, v81, v62                              // 000000010FC8: D1D3003E 04FAA350
	v_max3_f32 v62, v82, v83, v62                              // 000000010FD0: D1D3003E 04FAA752
	v_max3_f32 v62, v84, v85, v62                              // 000000010FD8: D1D3003E 04FAAB54
	v_max3_f32 v62, v86, v87, v62                              // 000000010FE0: D1D3003E 04FAAF56
	v_max3_f32 v62, v88, v89, v62                              // 000000010FE8: D1D3003E 04FAB358
	v_max3_f32 v62, v90, v91, v62                              // 000000010FF0: D1D3003E 04FAB75A
	v_max3_f32 v62, v92, v93, v62                              // 000000010FF8: D1D3003E 04FABB5C
	v_max3_f32 v62, v94, v95, v62                              // 000000011000: D1D3003E 04FABF5E
	v_mov_b32_e32 v41, 0xff800000                              // 000000011008: 7E5202FF FF800000
	v_cmp_eq_u32_e64 s[40:41], v41, v14                        // 000000011010: D0CA0028 00021D29
	s_nop 1                                                    // 000000011018: BF800001
	v_max_f32_e32 v18, v62, v14                                // 00000001101C: 16241D3E
	v_mul_f32_e32 v67, s64, v18                                // 000000011020: 0A862440
	v_fma_f32 v128, v128, s64, -v67                            // 000000011024: D1CB0080 850C8180
	v_fma_f32 v129, v129, s64, -v67                            // 00000001102C: D1CB0081 850C8181
	v_fma_f32 v130, v130, s64, -v67                            // 000000011034: D1CB0082 850C8182
	v_fma_f32 v131, v131, s64, -v67                            // 00000001103C: D1CB0083 850C8183
	v_fma_f32 v132, v132, s64, -v67                            // 000000011044: D1CB0084 850C8184
	v_fma_f32 v133, v133, s64, -v67                            // 00000001104C: D1CB0085 850C8185
	v_fma_f32 v134, v134, s64, -v67                            // 000000011054: D1CB0086 850C8186
	v_fma_f32 v135, v135, s64, -v67                            // 00000001105C: D1CB0087 850C8187
	v_fma_f32 v136, v136, s64, -v67                            // 000000011064: D1CB0088 850C8188
	v_fma_f32 v137, v137, s64, -v67                            // 00000001106C: D1CB0089 850C8189
	v_fma_f32 v138, v138, s64, -v67                            // 000000011074: D1CB008A 850C818A
	v_fma_f32 v139, v139, s64, -v67                            // 00000001107C: D1CB008B 850C818B
	v_fma_f32 v140, v140, s64, -v67                            // 000000011084: D1CB008C 850C818C
	v_fma_f32 v141, v141, s64, -v67                            // 00000001108C: D1CB008D 850C818D
	v_fma_f32 v142, v142, s64, -v67                            // 000000011094: D1CB008E 850C818E
	v_fma_f32 v143, v143, s64, -v67                            // 00000001109C: D1CB008F 850C818F
	v_exp_f32_e32 v128, v128                                   // 0000000110A4: 7F004180
	v_exp_f32_e32 v129, v129                                   // 0000000110A8: 7F024181
	v_exp_f32_e32 v130, v130                                   // 0000000110AC: 7F044182
	v_exp_f32_e32 v131, v131                                   // 0000000110B0: 7F064183
	v_exp_f32_e32 v132, v132                                   // 0000000110B4: 7F084184
	v_exp_f32_e32 v133, v133                                   // 0000000110B8: 7F0A4185
	v_exp_f32_e32 v134, v134                                   // 0000000110BC: 7F0C4186
	v_exp_f32_e32 v135, v135                                   // 0000000110C0: 7F0E4187
	v_exp_f32_e32 v136, v136                                   // 0000000110C4: 7F104188
	v_exp_f32_e32 v137, v137                                   // 0000000110C8: 7F124189
	v_exp_f32_e32 v138, v138                                   // 0000000110CC: 7F14418A
	v_exp_f32_e32 v139, v139                                   // 0000000110D0: 7F16418B
	v_exp_f32_e32 v140, v140                                   // 0000000110D4: 7F18418C
	v_exp_f32_e32 v141, v141                                   // 0000000110D8: 7F1A418D
	v_exp_f32_e32 v142, v142                                   // 0000000110DC: 7F1C418E
	v_exp_f32_e32 v143, v143                                   // 0000000110E0: 7F1E418F
	v_mul_f32_dpp v240, v252, v128 quad_perm:[0,0,0,0] row_mask:0xf bank_mask:0xf// 0000000110E4: 0BE100FA FF0000FC
	v_mul_f32_dpp v241, v252, v129 quad_perm:[1,1,1,1] row_mask:0xf bank_mask:0xf// 0000000110EC: 0BE302FA FF0055FC
	v_mul_f32_dpp v242, v252, v130 quad_perm:[2,2,2,2] row_mask:0xf bank_mask:0xf// 0000000110F4: 0BE504FA FF00AAFC
	v_mul_f32_dpp v243, v252, v131 quad_perm:[3,3,3,3] row_mask:0xf bank_mask:0xf// 0000000110FC: 0BE706FA FF00FFFC
	v_mul_f32_dpp v244, v253, v132 quad_perm:[0,0,0,0] row_mask:0xf bank_mask:0xf// 000000011104: 0BE908FA FF0000FD
	v_mul_f32_dpp v245, v253, v133 quad_perm:[1,1,1,1] row_mask:0xf bank_mask:0xf// 00000001110C: 0BEB0AFA FF0055FD
	v_mul_f32_dpp v246, v253, v134 quad_perm:[2,2,2,2] row_mask:0xf bank_mask:0xf// 000000011114: 0BED0CFA FF00AAFD
	v_mul_f32_dpp v247, v253, v135 quad_perm:[3,3,3,3] row_mask:0xf bank_mask:0xf// 00000001111C: 0BEF0EFA FF00FFFD
	v_mul_f32_dpp v248, v254, v136 quad_perm:[0,0,0,0] row_mask:0xf bank_mask:0xf// 000000011124: 0BF110FA FF0000FE
	v_mul_f32_dpp v249, v254, v137 quad_perm:[1,1,1,1] row_mask:0xf bank_mask:0xf// 00000001112C: 0BF312FA FF0055FE
	v_mul_f32_dpp v250, v254, v138 quad_perm:[2,2,2,2] row_mask:0xf bank_mask:0xf// 000000011134: 0BF514FA FF00AAFE
	v_mul_f32_dpp v251, v254, v139 quad_perm:[3,3,3,3] row_mask:0xf bank_mask:0xf// 00000001113C: 0BF716FA FF00FFFE
	v_mul_f32_dpp v252, v255, v140 quad_perm:[0,0,0,0] row_mask:0xf bank_mask:0xf// 000000011144: 0BF918FA FF0000FF
	v_mul_f32_dpp v253, v255, v141 quad_perm:[1,1,1,1] row_mask:0xf bank_mask:0xf// 00000001114C: 0BFB1AFA FF0055FF
	v_mul_f32_dpp v254, v255, v142 quad_perm:[2,2,2,2] row_mask:0xf bank_mask:0xf// 000000011154: 0BFD1CFA FF00AAFF
	v_mul_f32_dpp v255, v255, v143 quad_perm:[3,3,3,3] row_mask:0xf bank_mask:0xf// 00000001115C: 0BFF1EFA FF00FFFF
	v_mov_b32_e32 v62, 0x358637bd                              // 000000011164: 7E7C02FF 358637BD
	v_max3_f32 v62, |v240|, |v241|, v62                        // 00000001116C: D1D3033E 04FBE3F0
	v_max3_f32 v62, |v242|, |v243|, v62                        // 000000011174: D1D3033E 04FBE7F2
	v_max3_f32 v62, |v244|, |v245|, v62                        // 00000001117C: D1D3033E 04FBEBF4
	v_max3_f32 v62, |v246|, |v247|, v62                        // 000000011184: D1D3033E 04FBEFF6
	v_max3_f32 v62, |v248|, |v249|, v62                        // 00000001118C: D1D3033E 04FBF3F8
	v_max3_f32 v62, |v250|, |v251|, v62                        // 000000011194: D1D3033E 04FBF7FA
	v_max3_f32 v62, |v252|, |v253|, v62                        // 00000001119C: D1D3033E 04FBFBFC
	v_max3_f32 v62, |v254|, |v255|, v62                        // 0000000111A4: D1D3033E 04FBFFFE
	ds_write_b32 v11, v62 offset:20992                         // 0000000111AC: D81A5200 00003E0B
	v_sub_f32_e32 v63, v14, v18                                // 0000000111B4: 047E250E
	v_cndmask_b32_e64 v63, v63, 0, s[40:41]                    // 0000000111B8: D100003F 00A1013F
	v_mov_b32_e32 v14, v18                                     // 0000000111C0: 7E1C0312
	v_mul_f32_e32 v63, s64, v63                                // 0000000111C4: 0A7E7E40
	v_exp_f32_e32 v63, v63                                     // 0000000111C8: 7E7E413F
	s_waitcnt lgkmcnt(0)                                       // 0000000111CC: BF8CC07F
	s_barrier                                                  // 0000000111D0: BF8A0000
	ds_read_b32 v80, v10 offset:20992                          // 0000000111D4: D86C5200 5000000A
	ds_read_b32 v81, v10 offset:21056                          // 0000000111DC: D86C5240 5100000A
	ds_read_b32 v82, v10 offset:21120                          // 0000000111E4: D86C5280 5200000A
	ds_read_b32 v83, v10 offset:21184                          // 0000000111EC: D86C52C0 5300000A
	ds_read_b32 v84, v10 offset:21248                          // 0000000111F4: D86C5300 5400000A
	ds_read_b32 v85, v10 offset:21312                          // 0000000111FC: D86C5340 5500000A
	ds_read_b32 v86, v10 offset:21376                          // 000000011204: D86C5380 5600000A
	ds_read_b32 v87, v10 offset:21440                          // 00000001120C: D86C53C0 5700000A
	ds_read_b32 v88, v10 offset:21504                          // 000000011214: D86C5400 5800000A
	ds_read_b32 v89, v10 offset:21568                          // 00000001121C: D86C5440 5900000A
	ds_read_b32 v90, v10 offset:21632                          // 000000011224: D86C5480 5A00000A
	ds_read_b32 v91, v10 offset:21696                          // 00000001122C: D86C54C0 5B00000A
	ds_read_b32 v92, v10 offset:21760                          // 000000011234: D86C5500 5C00000A
	ds_read_b32 v93, v10 offset:21824                          // 00000001123C: D86C5540 5D00000A
	ds_read_b32 v94, v10 offset:21888                          // 000000011244: D86C5580 5E00000A
	ds_read_b32 v95, v10 offset:21952                          // 00000001124C: D86C55C0 5F00000A
	v_mul_f32_e32 v47, v63, v47                                // 000000011254: 0A5E5F3F
	v_mov_b32_e32 v18, v128                                    // 000000011258: 7E240380
	v_add_f32_e32 v18, v129, v18                               // 00000001125C: 02242581
	v_add_f32_e32 v18, v130, v18                               // 000000011260: 02242582
	v_add_f32_e32 v18, v131, v18                               // 000000011264: 02242583
	;; [unrolled: 1-line block ×3, first 2 shown]
	v_add_f32_e32 v18, v133, v18                               // 00000001126C: 02242585
	v_add_f32_e32 v18, v134, v18                               // 000000011270: 02242586
	v_add_f32_e32 v18, v135, v18                               // 000000011274: 02242587
	;; [unrolled: 1-line block ×3, first 2 shown]
	v_add_f32_e32 v18, v137, v18                               // 00000001127C: 02242589
	v_add_f32_e32 v18, v138, v18                               // 000000011280: 0224258A
	v_add_f32_e32 v18, v139, v18                               // 000000011284: 0224258B
	v_add_f32_e32 v18, v140, v18                               // 000000011288: 0224258C
	v_add_f32_e32 v18, v141, v18                               // 00000001128C: 0224258D
	v_add_f32_e32 v18, v142, v18                               // 000000011290: 0224258E
	v_add_f32_e32 v18, v143, v18                               // 000000011294: 0224258F
	v_add_f32_e32 v47, v18, v47                                // 000000011298: 025E5F12
	s_waitcnt lgkmcnt(0)                                       // 00000001129C: BF8CC07F
	v_max3_f32 v62, |v80|, |v81|, v62                          // 0000000112A0: D1D3033E 04FAA350
	v_max3_f32 v62, |v82|, |v83|, v62                          // 0000000112A8: D1D3033E 04FAA752
	v_max3_f32 v62, |v84|, |v85|, v62                          // 0000000112B0: D1D3033E 04FAAB54
	v_max3_f32 v62, |v86|, |v87|, v62                          // 0000000112B8: D1D3033E 04FAAF56
	v_max3_f32 v62, |v88|, |v89|, v62                          // 0000000112C0: D1D3033E 04FAB358
	v_max3_f32 v62, |v90|, |v91|, v62                          // 0000000112C8: D1D3033E 04FAB75A
	v_max3_f32 v62, |v92|, |v93|, v62                          // 0000000112D0: D1D3033E 04FABB5C
	v_max3_f32 v62, |v94|, |v95|, v62                          // 0000000112D8: D1D3033E 04FABF5E
	s_nop 2                                                    // 0000000112E0: BF800002
	v_rcp_f32_e32 v62, v62                                     // 0000000112E4: 7E7C453E
	s_nop 1                                                    // 0000000112E8: BF800001
	v_mul_f32_e32 v62, 0x42fe0000, v62                         // 0000000112EC: 0A7C7CFF 42FE0000
	v_mul_f32_e32 v128, v62, v240                              // 0000000112F4: 0B01E13E
	v_mul_f32_e32 v129, v62, v241                              // 0000000112F8: 0B03E33E
	v_mul_f32_e32 v130, v62, v242                              // 0000000112FC: 0B05E53E
	v_mul_f32_e32 v131, v62, v243                              // 000000011300: 0B07E73E
	v_mul_f32_e32 v132, v62, v244                              // 000000011304: 0B09E93E
	v_mul_f32_e32 v133, v62, v245                              // 000000011308: 0B0BEB3E
	v_mul_f32_e32 v134, v62, v246                              // 00000001130C: 0B0DED3E
	v_mul_f32_e32 v135, v62, v247                              // 000000011310: 0B0FEF3E
	v_mul_f32_e32 v136, v62, v248                              // 000000011314: 0B11F13E
	v_mul_f32_e32 v137, v62, v249                              // 000000011318: 0B13F33E
	v_mul_f32_e32 v138, v62, v250                              // 00000001131C: 0B15F53E
	v_mul_f32_e32 v139, v62, v251                              // 000000011320: 0B17F73E
	v_mul_f32_e32 v140, v62, v252                              // 000000011324: 0B19F93E
	v_mul_f32_e32 v141, v62, v253                              // 000000011328: 0B1BFB3E
	v_mul_f32_e32 v142, v62, v254                              // 00000001132C: 0B1DFD3E
	v_mul_f32_e32 v143, v62, v255                              // 000000011330: 0B1FFF3E
	v_cvt_i32_f32_e32 v128, v128                               // 000000011334: 7F001180
	v_cvt_i32_f32_e32 v129, v129                               // 000000011338: 7F021181
	v_cvt_i32_f32_e32 v130, v130                               // 00000001133C: 7F041182
	v_cvt_i32_f32_e32 v131, v131                               // 000000011340: 7F061183
	v_cvt_i32_f32_e32 v132, v132                               // 000000011344: 7F081184
	v_cvt_i32_f32_e32 v133, v133                               // 000000011348: 7F0A1185
	v_cvt_i32_f32_e32 v134, v134                               // 00000001134C: 7F0C1186
	v_cvt_i32_f32_e32 v135, v135                               // 000000011350: 7F0E1187
	v_cvt_i32_f32_e32 v136, v136                               // 000000011354: 7F101188
	v_cvt_i32_f32_e32 v137, v137                               // 000000011358: 7F121189
	v_cvt_i32_f32_e32 v138, v138                               // 00000001135C: 7F14118A
	v_cvt_i32_f32_e32 v139, v139                               // 000000011360: 7F16118B
	v_cvt_i32_f32_e32 v140, v140                               // 000000011364: 7F18118C
	v_cvt_i32_f32_e32 v141, v141                               // 000000011368: 7F1A118D
	v_cvt_i32_f32_e32 v142, v142                               // 00000001136C: 7F1C118E
	v_cvt_i32_f32_e32 v143, v143                               // 000000011370: 7F1E118F
	v_perm_b32 v128, v129, v128, s53                           // 000000011374: D1ED0080 00D70181
	v_perm_b32 v128, v130, v128, s54                           // 00000001137C: D1ED0080 00DB0182
	v_perm_b32 v128, v131, v128, s55                           // 000000011384: D1ED0080 00DF0183
	v_perm_b32 v129, v133, v132, s53                           // 00000001138C: D1ED0081 00D70985
	v_perm_b32 v129, v134, v129, s54                           // 000000011394: D1ED0081 00DB0386
	v_perm_b32 v129, v135, v129, s55                           // 00000001139C: D1ED0081 00DF0387
	v_perm_b32 v130, v137, v136, s53                           // 0000000113A4: D1ED0082 00D71189
	v_perm_b32 v130, v138, v130, s54                           // 0000000113AC: D1ED0082 00DB058A
	v_perm_b32 v130, v139, v130, s55                           // 0000000113B4: D1ED0082 00DF058B
	v_perm_b32 v131, v141, v140, s53                           // 0000000113BC: D1ED0083 00D7198D
	v_perm_b32 v131, v142, v131, s54                           // 0000000113C4: D1ED0083 00DB078E
	v_perm_b32 v131, v143, v131, s55                           // 0000000113CC: D1ED0083 00DF078F
	ds_write_b32 v13, v128 offset:25088                        // 0000000113D4: D81A6200 0000800D
	ds_write_b32 v13, v129 offset:26112                        // 0000000113DC: D81A6600 0000810D
	ds_write_b32 v13, v130 offset:27136                        // 0000000113E4: D81A6A00 0000820D
	ds_write_b32 v13, v131 offset:28160                        // 0000000113EC: D81A6E00 0000830D
	v_add_f32_e32 v224, v224, v192                             // 0000000113F4: 03C181E0
	v_add_f32_e32 v225, v225, v193                             // 0000000113F8: 03C383E1
	v_add_f32_e32 v226, v226, v194                             // 0000000113FC: 03C585E2
	v_add_f32_e32 v227, v227, v195                             // 000000011400: 03C787E3
	v_add_f32_e32 v228, v228, v196                             // 000000011404: 03C989E4
	v_add_f32_e32 v229, v229, v197                             // 000000011408: 03CB8BE5
	v_add_f32_e32 v230, v230, v198                             // 00000001140C: 03CD8DE6
	v_add_f32_e32 v231, v231, v199                             // 000000011410: 03CF8FE7
	v_rcp_f32_e32 v58, v62                                     // 000000011414: 7E74453E
	s_waitcnt lgkmcnt(0)                                       // 000000011418: BF8CC07F
	s_barrier                                                  // 00000001141C: BF8A0000
	ds_read_b64 v[128:129], v12 offset:25088                   // 000000011420: D8EC6200 8000000C
	ds_read_b64 v[130:131], v12 offset:25216                   // 000000011428: D8EC6280 8200000C
	ds_read_b64 v[132:133], v12 offset:26112                   // 000000011430: D8EC6600 8400000C
	ds_read_b64 v[134:135], v12 offset:26240                   // 000000011438: D8EC6680 8600000C
	ds_read_b64 v[136:137], v12 offset:27136                   // 000000011440: D8EC6A00 8800000C
	ds_read_b64 v[138:139], v12 offset:27264                   // 000000011448: D8EC6A80 8A00000C
	ds_read_b64 v[140:141], v12 offset:28160                   // 000000011450: D8EC6E00 8C00000C
	ds_read_b64 v[142:143], v12 offset:28288                   // 000000011458: D8EC6E80 8E00000C
	v_mov_b32_dpp v41, v53 row_shr:4 row_mask:0xf bank_mask:0xf// 000000011460: 7E5202FA FF011435
	v_mov_b32_dpp v42, v53 row_shl:4 row_mask:0xf bank_mask:0xf// 000000011468: 7E5402FA FF010435
	v_cndmask_b32_e64 v248, v53, v41, s[44:45]                 // 000000011470: D10000F8 00B25335
	v_cndmask_b32_e64 v249, v42, v53, s[44:45]                 // 000000011478: D10000F9 00B26B2A
	v_mov_b32_dpp v41, v248 row_shr:8 row_mask:0xf bank_mask:0xf// 000000011480: 7E5202FA FF0118F8
	v_mov_b32_dpp v42, v248 row_shl:8 row_mask:0xf bank_mask:0xf// 000000011488: 7E5402FA FF0108F8
	v_mov_b32_dpp v43, v249 row_shr:8 row_mask:0xf bank_mask:0xf// 000000011490: 7E5602FA FF0118F9
	v_mov_b32_dpp v44, v249 row_shl:8 row_mask:0xf bank_mask:0xf// 000000011498: 7E5802FA FF0108F9
	v_mov_b32_e32 v45, v248                                    // 0000000114A0: 7E5A03F8
	v_mov_b32_e32 v46, v249                                    // 0000000114A4: 7E5C03F9
	v_cndmask_b32_e64 v248, v45, v41, s[42:43]                 // 0000000114A8: D10000F8 00AA532D
	v_cndmask_b32_e64 v250, v45, v42, s[78:79]                 // 0000000114B0: D10000FA 013A552D
	v_cndmask_b32_e64 v249, v46, v43, s[42:43]                 // 0000000114B8: D10000F9 00AA572E
	v_cndmask_b32_e64 v251, v46, v44, s[78:79]                 // 0000000114C0: D10000FB 013A592E
	v_mov_b32_dpp v41, v73 row_shr:4 row_mask:0xf bank_mask:0xf// 0000000114C8: 7E5202FA FF011449
	v_mov_b32_dpp v42, v73 row_shl:4 row_mask:0xf bank_mask:0xf// 0000000114D0: 7E5402FA FF010449
	v_cndmask_b32_e64 v252, v73, v41, s[44:45]                 // 0000000114D8: D10000FC 00B25349
	v_cndmask_b32_e64 v253, v42, v73, s[44:45]                 // 0000000114E0: D10000FD 00B2932A
	v_mov_b32_dpp v41, v252 row_shr:8 row_mask:0xf bank_mask:0xf// 0000000114E8: 7E5202FA FF0118FC
	v_mov_b32_dpp v42, v252 row_shl:8 row_mask:0xf bank_mask:0xf// 0000000114F0: 7E5402FA FF0108FC
	v_mov_b32_dpp v43, v253 row_shr:8 row_mask:0xf bank_mask:0xf// 0000000114F8: 7E5602FA FF0118FD
	v_mov_b32_dpp v44, v253 row_shl:8 row_mask:0xf bank_mask:0xf// 000000011500: 7E5802FA FF0108FD
	v_mov_b32_e32 v45, v252                                    // 000000011508: 7E5A03FC
	v_mov_b32_e32 v46, v253                                    // 00000001150C: 7E5C03FD
	v_cndmask_b32_e64 v252, v45, v41, s[42:43]                 // 000000011510: D10000FC 00AA532D
	v_cndmask_b32_e64 v254, v45, v42, s[78:79]                 // 000000011518: D10000FE 013A552D
	v_cndmask_b32_e64 v253, v46, v43, s[42:43]                 // 000000011520: D10000FD 00AA572E
	v_cndmask_b32_e64 v255, v46, v44, s[78:79]                 // 000000011528: D10000FF 013A592E
	v_cvt_f32_i32_e32 v144, v144                               // 000000011530: 7F200B90
	v_cvt_f32_i32_e32 v145, v145                               // 000000011534: 7F220B91
	v_cvt_f32_i32_e32 v146, v146                               // 000000011538: 7F240B92
	v_cvt_f32_i32_e32 v147, v147                               // 00000001153C: 7F260B93
	v_cvt_f32_i32_e32 v148, v148                               // 000000011540: 7F280B94
	v_cvt_f32_i32_e32 v149, v149                               // 000000011544: 7F2A0B95
	v_cvt_f32_i32_e32 v150, v150                               // 000000011548: 7F2C0B96
	v_cvt_f32_i32_e32 v151, v151                               // 00000001154C: 7F2E0B97
	v_cvt_f32_i32_e32 v152, v152                               // 000000011550: 7F300B98
	v_cvt_f32_i32_e32 v153, v153                               // 000000011554: 7F320B99
	v_cvt_f32_i32_e32 v154, v154                               // 000000011558: 7F340B9A
	v_cvt_f32_i32_e32 v155, v155                               // 00000001155C: 7F360B9B
	v_cvt_f32_i32_e32 v156, v156                               // 000000011560: 7F380B9C
	v_cvt_f32_i32_e32 v157, v157                               // 000000011564: 7F3A0B9D
	v_cvt_f32_i32_e32 v158, v158                               // 000000011568: 7F3C0B9E
	v_cvt_f32_i32_e32 v159, v159                               // 00000001156C: 7F3E0B9F
	v_mul_f32_e32 v144, v55, v144                              // 000000011570: 0B212137
	v_mul_f32_e32 v145, v55, v145                              // 000000011574: 0B232337
	v_mul_f32_e32 v146, v55, v146                              // 000000011578: 0B252537
	v_mul_f32_e32 v147, v55, v147                              // 00000001157C: 0B272737
	v_mul_f32_e32 v148, v55, v148                              // 000000011580: 0B292937
	v_mul_f32_e32 v149, v55, v149                              // 000000011584: 0B2B2B37
	v_mul_f32_e32 v150, v55, v150                              // 000000011588: 0B2D2D37
	v_mul_f32_e32 v151, v55, v151                              // 00000001158C: 0B2F2F37
	v_mul_f32_e32 v152, v55, v152                              // 000000011590: 0B313137
	v_mul_f32_e32 v153, v55, v153                              // 000000011594: 0B333337
	v_mul_f32_e32 v154, v55, v154                              // 000000011598: 0B353537
	v_mul_f32_e32 v155, v55, v155                              // 00000001159C: 0B373737
	v_mul_f32_e32 v156, v55, v156                              // 0000000115A0: 0B393937
	v_mul_f32_e32 v157, v55, v157                              // 0000000115A4: 0B3B3B37
	v_mul_f32_e32 v158, v55, v158                              // 0000000115A8: 0B3D3D37
	v_mul_f32_e32 v159, v55, v159                              // 0000000115AC: 0B3F3F37
	v_mul_f32_dpp v144, v248, v144 quad_perm:[0,0,0,0] row_mask:0xf bank_mask:0xf// 0000000115B0: 0B2120FA FF0000F8
	v_mul_f32_dpp v145, v248, v145 quad_perm:[1,1,1,1] row_mask:0xf bank_mask:0xf// 0000000115B8: 0B2322FA FF0055F8
	v_mul_f32_dpp v146, v248, v146 quad_perm:[2,2,2,2] row_mask:0xf bank_mask:0xf// 0000000115C0: 0B2524FA FF00AAF8
	v_mul_f32_dpp v147, v248, v147 quad_perm:[3,3,3,3] row_mask:0xf bank_mask:0xf// 0000000115C8: 0B2726FA FF00FFF8
	v_mul_f32_dpp v148, v249, v148 quad_perm:[0,0,0,0] row_mask:0xf bank_mask:0xf// 0000000115D0: 0B2928FA FF0000F9
	v_mul_f32_dpp v149, v249, v149 quad_perm:[1,1,1,1] row_mask:0xf bank_mask:0xf// 0000000115D8: 0B2B2AFA FF0055F9
	v_mul_f32_dpp v150, v249, v150 quad_perm:[2,2,2,2] row_mask:0xf bank_mask:0xf// 0000000115E0: 0B2D2CFA FF00AAF9
	v_mul_f32_dpp v151, v249, v151 quad_perm:[3,3,3,3] row_mask:0xf bank_mask:0xf// 0000000115E8: 0B2F2EFA FF00FFF9
	v_mul_f32_dpp v152, v250, v152 quad_perm:[0,0,0,0] row_mask:0xf bank_mask:0xf// 0000000115F0: 0B3130FA FF0000FA
	v_mul_f32_dpp v153, v250, v153 quad_perm:[1,1,1,1] row_mask:0xf bank_mask:0xf// 0000000115F8: 0B3332FA FF0055FA
	v_mul_f32_dpp v154, v250, v154 quad_perm:[2,2,2,2] row_mask:0xf bank_mask:0xf// 000000011600: 0B3534FA FF00AAFA
	v_mul_f32_dpp v155, v250, v155 quad_perm:[3,3,3,3] row_mask:0xf bank_mask:0xf// 000000011608: 0B3736FA FF00FFFA
	v_mul_f32_dpp v156, v251, v156 quad_perm:[0,0,0,0] row_mask:0xf bank_mask:0xf// 000000011610: 0B3938FA FF0000FB
	v_mul_f32_dpp v157, v251, v157 quad_perm:[1,1,1,1] row_mask:0xf bank_mask:0xf// 000000011618: 0B3B3AFA FF0055FB
	v_mul_f32_dpp v158, v251, v158 quad_perm:[2,2,2,2] row_mask:0xf bank_mask:0xf// 000000011620: 0B3D3CFA FF00AAFB
	v_mul_f32_dpp v159, v251, v159 quad_perm:[3,3,3,3] row_mask:0xf bank_mask:0xf// 000000011628: 0B3F3EFA FF00FFFB
	s_and_b32 s60, s72, 0xff                                   // 000000011630: 863CFF48 000000FF
	v_mov_b32_e32 v42, s60                                     // 000000011638: 7E54023C
	v_lshrrev_b32_e32 v240, 4, v0                              // 00000001163C: 21E00084
	v_mul_i32_i24_e32 v240, 4, v240                            // 000000011640: 0DE1E084
	s_mul_i32 s60, s7, 16                                      // 000000011644: 923C9007
	v_add_u32_e32 v240, s60, v240                              // 000000011648: 69E1E03C
	v_add_u32_e32 v241, 1, v240                                // 00000001164C: 69E3E081
	v_add_u32_e32 v242, 2, v240                                // 000000011650: 69E5E082
	v_add_u32_e32 v243, 3, v240                                // 000000011654: 69E7E083
	v_mov_b32_e32 v41, 0xff800000                              // 000000011658: 7E5202FF FF800000
	v_cmp_lt_u32_e64 s[40:41], v240, v42                       // 000000011660: D0C90028 000255F0
	v_add_u32_e32 v240, 64, v240                               // 000000011668: 69E1E0C0
	s_nop 0                                                    // 00000001166C: BF800000
	v_cndmask_b32_e64 v144, v41, v144, s[40:41]                // 000000011670: D1000090 00A32129
	v_cmp_lt_u32_e64 s[40:41], v241, v42                       // 000000011678: D0C90028 000255F1
	v_add_u32_e32 v241, 64, v241                               // 000000011680: 69E3E2C0
	s_nop 0                                                    // 000000011684: BF800000
	v_cndmask_b32_e64 v145, v41, v145, s[40:41]                // 000000011688: D1000091 00A32329
	v_cmp_lt_u32_e64 s[40:41], v242, v42                       // 000000011690: D0C90028 000255F2
	v_add_u32_e32 v242, 64, v242                               // 000000011698: 69E5E4C0
	s_nop 0                                                    // 00000001169C: BF800000
	v_cndmask_b32_e64 v146, v41, v146, s[40:41]                // 0000000116A0: D1000092 00A32529
	v_cmp_lt_u32_e64 s[40:41], v243, v42                       // 0000000116A8: D0C90028 000255F3
	v_add_u32_e32 v243, 64, v243                               // 0000000116B0: 69E7E6C0
	s_nop 0                                                    // 0000000116B4: BF800000
	v_cndmask_b32_e64 v147, v41, v147, s[40:41]                // 0000000116B8: D1000093 00A32729
	v_cmp_lt_u32_e64 s[40:41], v240, v42                       // 0000000116C0: D0C90028 000255F0
	v_add_u32_e32 v240, 64, v240                               // 0000000116C8: 69E1E0C0
	s_nop 0                                                    // 0000000116CC: BF800000
	v_cndmask_b32_e64 v148, v41, v148, s[40:41]                // 0000000116D0: D1000094 00A32929
	v_cmp_lt_u32_e64 s[40:41], v241, v42                       // 0000000116D8: D0C90028 000255F1
	v_add_u32_e32 v241, 64, v241                               // 0000000116E0: 69E3E2C0
	s_nop 0                                                    // 0000000116E4: BF800000
	v_cndmask_b32_e64 v149, v41, v149, s[40:41]                // 0000000116E8: D1000095 00A32B29
	v_cmp_lt_u32_e64 s[40:41], v242, v42                       // 0000000116F0: D0C90028 000255F2
	v_add_u32_e32 v242, 64, v242                               // 0000000116F8: 69E5E4C0
	s_nop 0                                                    // 0000000116FC: BF800000
	v_cndmask_b32_e64 v150, v41, v150, s[40:41]                // 000000011700: D1000096 00A32D29
	v_cmp_lt_u32_e64 s[40:41], v243, v42                       // 000000011708: D0C90028 000255F3
	v_add_u32_e32 v243, 64, v243                               // 000000011710: 69E7E6C0
	s_nop 0                                                    // 000000011714: BF800000
	v_cndmask_b32_e64 v151, v41, v151, s[40:41]                // 000000011718: D1000097 00A32F29
	v_cmp_lt_u32_e64 s[40:41], v240, v42                       // 000000011720: D0C90028 000255F0
	v_add_u32_e32 v240, 64, v240                               // 000000011728: 69E1E0C0
	s_nop 0                                                    // 00000001172C: BF800000
	v_cndmask_b32_e64 v152, v41, v152, s[40:41]                // 000000011730: D1000098 00A33129
	v_cmp_lt_u32_e64 s[40:41], v241, v42                       // 000000011738: D0C90028 000255F1
	v_add_u32_e32 v241, 64, v241                               // 000000011740: 69E3E2C0
	s_nop 0                                                    // 000000011744: BF800000
	v_cndmask_b32_e64 v153, v41, v153, s[40:41]                // 000000011748: D1000099 00A33329
	v_cmp_lt_u32_e64 s[40:41], v242, v42                       // 000000011750: D0C90028 000255F2
	v_add_u32_e32 v242, 64, v242                               // 000000011758: 69E5E4C0
	s_nop 0                                                    // 00000001175C: BF800000
	v_cndmask_b32_e64 v154, v41, v154, s[40:41]                // 000000011760: D100009A 00A33529
	v_cmp_lt_u32_e64 s[40:41], v243, v42                       // 000000011768: D0C90028 000255F3
	v_add_u32_e32 v243, 64, v243                               // 000000011770: 69E7E6C0
	s_nop 0                                                    // 000000011774: BF800000
	v_cndmask_b32_e64 v155, v41, v155, s[40:41]                // 000000011778: D100009B 00A33729
	v_cmp_lt_u32_e64 s[40:41], v240, v42                       // 000000011780: D0C90028 000255F0
	v_add_u32_e32 v240, 64, v240                               // 000000011788: 69E1E0C0
	s_nop 0                                                    // 00000001178C: BF800000
	v_cndmask_b32_e64 v156, v41, v156, s[40:41]                // 000000011790: D100009C 00A33929
	v_cmp_lt_u32_e64 s[40:41], v241, v42                       // 000000011798: D0C90028 000255F1
	v_add_u32_e32 v241, 64, v241                               // 0000000117A0: 69E3E2C0
	s_nop 0                                                    // 0000000117A4: BF800000
	v_cndmask_b32_e64 v157, v41, v157, s[40:41]                // 0000000117A8: D100009D 00A33B29
	v_cmp_lt_u32_e64 s[40:41], v242, v42                       // 0000000117B0: D0C90028 000255F2
	v_add_u32_e32 v242, 64, v242                               // 0000000117B8: 69E5E4C0
	s_nop 0                                                    // 0000000117BC: BF800000
	v_cndmask_b32_e64 v158, v41, v158, s[40:41]                // 0000000117C0: D100009E 00A33D29
	v_cmp_lt_u32_e64 s[40:41], v243, v42                       // 0000000117C8: D0C90028 000255F3
	v_add_u32_e32 v243, 64, v243                               // 0000000117D0: 69E7E6C0
	s_nop 0                                                    // 0000000117D4: BF800000
	v_cndmask_b32_e64 v159, v41, v159, s[40:41]                // 0000000117D8: D100009F 00A33F29
	v_mov_b32_e32 v62, v144                                    // 0000000117E0: 7E7C0390
	v_max3_f32 v62, v144, v145, v62                            // 0000000117E4: D1D3003E 04FB2390
	v_max3_f32 v62, v146, v147, v62                            // 0000000117EC: D1D3003E 04FB2792
	v_max3_f32 v62, v148, v149, v62                            // 0000000117F4: D1D3003E 04FB2B94
	v_max3_f32 v62, v150, v151, v62                            // 0000000117FC: D1D3003E 04FB2F96
	v_max3_f32 v62, v152, v153, v62                            // 000000011804: D1D3003E 04FB3398
	v_max3_f32 v62, v154, v155, v62                            // 00000001180C: D1D3003E 04FB379A
	v_max3_f32 v62, v156, v157, v62                            // 000000011814: D1D3003E 04FB3B9C
	v_max3_f32 v62, v158, v159, v62                            // 00000001181C: D1D3003E 04FB3F9E
	ds_write_b32 v11, v62 offset:16896                         // 000000011824: D81A4200 00003E0B
	v_mul_f32_e32 v232, v64, v232                              // 00000001182C: 0BD1D140
	v_mul_f32_e32 v233, v64, v233                              // 000000011830: 0BD3D340
	v_mul_f32_e32 v234, v64, v234                              // 000000011834: 0BD5D540
	v_mul_f32_e32 v235, v64, v235                              // 000000011838: 0BD7D740
	v_mul_f32_e32 v236, v64, v236                              // 00000001183C: 0BD9D940
	v_mul_f32_e32 v237, v64, v237                              // 000000011840: 0BDBDB40
	v_mul_f32_e32 v238, v64, v238                              // 000000011844: 0BDDDD40
	v_mul_f32_e32 v239, v64, v239                              // 000000011848: 0BDFDF40
	s_waitcnt lgkmcnt(0)                                       // 00000001184C: BF8CC07F
	s_barrier                                                  // 000000011850: BF8A0000
	ds_read_b32 v80, v10 offset:16896                          // 000000011854: D86C4200 5000000A
	ds_read_b32 v81, v10 offset:16960                          // 00000001185C: D86C4240 5100000A
	ds_read_b32 v82, v10 offset:17024                          // 000000011864: D86C4280 5200000A
	ds_read_b32 v83, v10 offset:17088                          // 00000001186C: D86C42C0 5300000A
	ds_read_b32 v84, v10 offset:17152                          // 000000011874: D86C4300 5400000A
	ds_read_b32 v85, v10 offset:17216                          // 00000001187C: D86C4340 5500000A
	ds_read_b32 v86, v10 offset:17280                          // 000000011884: D86C4380 5600000A
	ds_read_b32 v87, v10 offset:17344                          // 00000001188C: D86C43C0 5700000A
	ds_read_b32 v88, v10 offset:17408                          // 000000011894: D86C4400 5800000A
	ds_read_b32 v89, v10 offset:17472                          // 00000001189C: D86C4440 5900000A
	ds_read_b32 v90, v10 offset:17536                          // 0000000118A4: D86C4480 5A00000A
	ds_read_b32 v91, v10 offset:17600                          // 0000000118AC: D86C44C0 5B00000A
	ds_read_b32 v92, v10 offset:17664                          // 0000000118B4: D86C4500 5C00000A
	ds_read_b32 v93, v10 offset:17728                          // 0000000118BC: D86C4540 5D00000A
	ds_read_b32 v94, v10 offset:17792                          // 0000000118C4: D86C4580 5E00000A
	ds_read_b32 v95, v10 offset:17856                          // 0000000118CC: D86C45C0 5F00000A
	v_cvt_f32_i32_e32 v200, v200                               // 0000000118D4: 7F900BC8
	v_cvt_f32_i32_e32 v201, v201                               // 0000000118D8: 7F920BC9
	v_cvt_f32_i32_e32 v202, v202                               // 0000000118DC: 7F940BCA
	v_cvt_f32_i32_e32 v203, v203                               // 0000000118E0: 7F960BCB
	v_cvt_f32_i32_e32 v204, v204                               // 0000000118E4: 7F980BCC
	v_cvt_f32_i32_e32 v205, v205                               // 0000000118E8: 7F9A0BCD
	v_cvt_f32_i32_e32 v206, v206                               // 0000000118EC: 7F9C0BCE
	v_cvt_f32_i32_e32 v207, v207                               // 0000000118F0: 7F9E0BCF
	v_mul_f32_e32 v200, v59, v200                              // 0000000118F4: 0B91913B
	v_mul_f32_e32 v201, v59, v201                              // 0000000118F8: 0B93933B
	v_mul_f32_e32 v202, v59, v202                              // 0000000118FC: 0B95953B
	v_mul_f32_e32 v203, v59, v203                              // 000000011900: 0B97973B
	v_mul_f32_e32 v204, v59, v204                              // 000000011904: 0B99993B
	v_mul_f32_e32 v205, v59, v205                              // 000000011908: 0B9B9B3B
	v_mul_f32_e32 v206, v59, v206                              // 00000001190C: 0B9D9D3B
	v_mul_f32_e32 v207, v59, v207                              // 000000011910: 0B9F9F3B
	s_waitcnt lgkmcnt(0)                                       // 000000011914: BF8CC07F
	v_max3_f32 v62, v80, v81, v62                              // 000000011918: D1D3003E 04FAA350
	v_max3_f32 v62, v82, v83, v62                              // 000000011920: D1D3003E 04FAA752
	v_max3_f32 v62, v84, v85, v62                              // 000000011928: D1D3003E 04FAAB54
	v_max3_f32 v62, v86, v87, v62                              // 000000011930: D1D3003E 04FAAF56
	v_max3_f32 v62, v88, v89, v62                              // 000000011938: D1D3003E 04FAB358
	v_max3_f32 v62, v90, v91, v62                              // 000000011940: D1D3003E 04FAB75A
	v_max3_f32 v62, v92, v93, v62                              // 000000011948: D1D3003E 04FABB5C
	v_max3_f32 v62, v94, v95, v62                              // 000000011950: D1D3003E 04FABF5E
	v_mov_b32_e32 v41, 0xff800000                              // 000000011958: 7E5202FF FF800000
	v_cmp_eq_u32_e64 s[40:41], v41, v15                        // 000000011960: D0CA0028 00021F29
	s_nop 1                                                    // 000000011968: BF800001
	v_max_f32_e32 v18, v62, v15                                // 00000001196C: 16241F3E
	v_mul_f32_e32 v67, s64, v18                                // 000000011970: 0A862440
	v_fma_f32 v144, v144, s64, -v67                            // 000000011974: D1CB0090 850C8190
	v_fma_f32 v145, v145, s64, -v67                            // 00000001197C: D1CB0091 850C8191
	v_fma_f32 v146, v146, s64, -v67                            // 000000011984: D1CB0092 850C8192
	v_fma_f32 v147, v147, s64, -v67                            // 00000001198C: D1CB0093 850C8193
	v_fma_f32 v148, v148, s64, -v67                            // 000000011994: D1CB0094 850C8194
	v_fma_f32 v149, v149, s64, -v67                            // 00000001199C: D1CB0095 850C8195
	v_fma_f32 v150, v150, s64, -v67                            // 0000000119A4: D1CB0096 850C8196
	v_fma_f32 v151, v151, s64, -v67                            // 0000000119AC: D1CB0097 850C8197
	v_fma_f32 v152, v152, s64, -v67                            // 0000000119B4: D1CB0098 850C8198
	v_fma_f32 v153, v153, s64, -v67                            // 0000000119BC: D1CB0099 850C8199
	v_fma_f32 v154, v154, s64, -v67                            // 0000000119C4: D1CB009A 850C819A
	v_fma_f32 v155, v155, s64, -v67                            // 0000000119CC: D1CB009B 850C819B
	v_fma_f32 v156, v156, s64, -v67                            // 0000000119D4: D1CB009C 850C819C
	v_fma_f32 v157, v157, s64, -v67                            // 0000000119DC: D1CB009D 850C819D
	v_fma_f32 v158, v158, s64, -v67                            // 0000000119E4: D1CB009E 850C819E
	v_fma_f32 v159, v159, s64, -v67                            // 0000000119EC: D1CB009F 850C819F
	v_exp_f32_e32 v144, v144                                   // 0000000119F4: 7F204190
	v_exp_f32_e32 v145, v145                                   // 0000000119F8: 7F224191
	v_exp_f32_e32 v146, v146                                   // 0000000119FC: 7F244192
	v_exp_f32_e32 v147, v147                                   // 000000011A00: 7F264193
	v_exp_f32_e32 v148, v148                                   // 000000011A04: 7F284194
	v_exp_f32_e32 v149, v149                                   // 000000011A08: 7F2A4195
	v_exp_f32_e32 v150, v150                                   // 000000011A0C: 7F2C4196
	v_exp_f32_e32 v151, v151                                   // 000000011A10: 7F2E4197
	v_exp_f32_e32 v152, v152                                   // 000000011A14: 7F304198
	v_exp_f32_e32 v153, v153                                   // 000000011A18: 7F324199
	v_exp_f32_e32 v154, v154                                   // 000000011A1C: 7F34419A
	v_exp_f32_e32 v155, v155                                   // 000000011A20: 7F36419B
	v_exp_f32_e32 v156, v156                                   // 000000011A24: 7F38419C
	v_exp_f32_e32 v157, v157                                   // 000000011A28: 7F3A419D
	v_exp_f32_e32 v158, v158                                   // 000000011A2C: 7F3C419E
	v_exp_f32_e32 v159, v159                                   // 000000011A30: 7F3E419F
	v_mul_f32_dpp v240, v252, v144 quad_perm:[0,0,0,0] row_mask:0xf bank_mask:0xf// 000000011A34: 0BE120FA FF0000FC
	v_mul_f32_dpp v241, v252, v145 quad_perm:[1,1,1,1] row_mask:0xf bank_mask:0xf// 000000011A3C: 0BE322FA FF0055FC
	v_mul_f32_dpp v242, v252, v146 quad_perm:[2,2,2,2] row_mask:0xf bank_mask:0xf// 000000011A44: 0BE524FA FF00AAFC
	v_mul_f32_dpp v243, v252, v147 quad_perm:[3,3,3,3] row_mask:0xf bank_mask:0xf// 000000011A4C: 0BE726FA FF00FFFC
	v_mul_f32_dpp v244, v253, v148 quad_perm:[0,0,0,0] row_mask:0xf bank_mask:0xf// 000000011A54: 0BE928FA FF0000FD
	v_mul_f32_dpp v245, v253, v149 quad_perm:[1,1,1,1] row_mask:0xf bank_mask:0xf// 000000011A5C: 0BEB2AFA FF0055FD
	v_mul_f32_dpp v246, v253, v150 quad_perm:[2,2,2,2] row_mask:0xf bank_mask:0xf// 000000011A64: 0BED2CFA FF00AAFD
	v_mul_f32_dpp v247, v253, v151 quad_perm:[3,3,3,3] row_mask:0xf bank_mask:0xf// 000000011A6C: 0BEF2EFA FF00FFFD
	v_mul_f32_dpp v248, v254, v152 quad_perm:[0,0,0,0] row_mask:0xf bank_mask:0xf// 000000011A74: 0BF130FA FF0000FE
	v_mul_f32_dpp v249, v254, v153 quad_perm:[1,1,1,1] row_mask:0xf bank_mask:0xf// 000000011A7C: 0BF332FA FF0055FE
	v_mul_f32_dpp v250, v254, v154 quad_perm:[2,2,2,2] row_mask:0xf bank_mask:0xf// 000000011A84: 0BF534FA FF00AAFE
	v_mul_f32_dpp v251, v254, v155 quad_perm:[3,3,3,3] row_mask:0xf bank_mask:0xf// 000000011A8C: 0BF736FA FF00FFFE
	v_mul_f32_dpp v252, v255, v156 quad_perm:[0,0,0,0] row_mask:0xf bank_mask:0xf// 000000011A94: 0BF938FA FF0000FF
	v_mul_f32_dpp v253, v255, v157 quad_perm:[1,1,1,1] row_mask:0xf bank_mask:0xf// 000000011A9C: 0BFB3AFA FF0055FF
	v_mul_f32_dpp v254, v255, v158 quad_perm:[2,2,2,2] row_mask:0xf bank_mask:0xf// 000000011AA4: 0BFD3CFA FF00AAFF
	v_mul_f32_dpp v255, v255, v159 quad_perm:[3,3,3,3] row_mask:0xf bank_mask:0xf// 000000011AAC: 0BFF3EFA FF00FFFF
	v_mov_b32_e32 v62, 0x358637bd                              // 000000011AB4: 7E7C02FF 358637BD
	v_max3_f32 v62, |v240|, |v241|, v62                        // 000000011ABC: D1D3033E 04FBE3F0
	v_max3_f32 v62, |v242|, |v243|, v62                        // 000000011AC4: D1D3033E 04FBE7F2
	v_max3_f32 v62, |v244|, |v245|, v62                        // 000000011ACC: D1D3033E 04FBEBF4
	v_max3_f32 v62, |v246|, |v247|, v62                        // 000000011AD4: D1D3033E 04FBEFF6
	v_max3_f32 v62, |v248|, |v249|, v62                        // 000000011ADC: D1D3033E 04FBF3F8
	v_max3_f32 v62, |v250|, |v251|, v62                        // 000000011AE4: D1D3033E 04FBF7FA
	v_max3_f32 v62, |v252|, |v253|, v62                        // 000000011AEC: D1D3033E 04FBFBFC
	v_max3_f32 v62, |v254|, |v255|, v62                        // 000000011AF4: D1D3033E 04FBFFFE
	ds_write_b32 v11, v62 offset:20992                         // 000000011AFC: D81A5200 00003E0B
	v_sub_f32_e32 v64, v15, v18                                // 000000011B04: 0480250F
	v_cndmask_b32_e64 v64, v64, 0, s[40:41]                    // 000000011B08: D1000040 00A10140
	v_mov_b32_e32 v15, v18                                     // 000000011B10: 7E1E0312
	v_mul_f32_e32 v64, s64, v64                                // 000000011B14: 0A808040
	v_exp_f32_e32 v64, v64                                     // 000000011B18: 7E804140
	s_waitcnt lgkmcnt(0)                                       // 000000011B1C: BF8CC07F
	s_barrier                                                  // 000000011B20: BF8A0000
	ds_read_b32 v80, v10 offset:20992                          // 000000011B24: D86C5200 5000000A
	ds_read_b32 v81, v10 offset:21056                          // 000000011B2C: D86C5240 5100000A
	ds_read_b32 v82, v10 offset:21120                          // 000000011B34: D86C5280 5200000A
	ds_read_b32 v83, v10 offset:21184                          // 000000011B3C: D86C52C0 5300000A
	ds_read_b32 v84, v10 offset:21248                          // 000000011B44: D86C5300 5400000A
	ds_read_b32 v85, v10 offset:21312                          // 000000011B4C: D86C5340 5500000A
	ds_read_b32 v86, v10 offset:21376                          // 000000011B54: D86C5380 5600000A
	ds_read_b32 v87, v10 offset:21440                          // 000000011B5C: D86C53C0 5700000A
	ds_read_b32 v88, v10 offset:21504                          // 000000011B64: D86C5400 5800000A
	ds_read_b32 v89, v10 offset:21568                          // 000000011B6C: D86C5440 5900000A
	ds_read_b32 v90, v10 offset:21632                          // 000000011B74: D86C5480 5A00000A
	ds_read_b32 v91, v10 offset:21696                          // 000000011B7C: D86C54C0 5B00000A
	ds_read_b32 v92, v10 offset:21760                          // 000000011B84: D86C5500 5C00000A
	ds_read_b32 v93, v10 offset:21824                          // 000000011B8C: D86C5540 5D00000A
	ds_read_b32 v94, v10 offset:21888                          // 000000011B94: D86C5580 5E00000A
	ds_read_b32 v95, v10 offset:21952                          // 000000011B9C: D86C55C0 5F00000A
	v_mul_f32_e32 v48, v64, v48                                // 000000011BA4: 0A606140
	v_mov_b32_e32 v18, v144                                    // 000000011BA8: 7E240390
	v_add_f32_e32 v18, v145, v18                               // 000000011BAC: 02242591
	v_add_f32_e32 v18, v146, v18                               // 000000011BB0: 02242592
	v_add_f32_e32 v18, v147, v18                               // 000000011BB4: 02242593
	v_add_f32_e32 v18, v148, v18                               // 000000011BB8: 02242594
	v_add_f32_e32 v18, v149, v18                               // 000000011BBC: 02242595
	v_add_f32_e32 v18, v150, v18                               // 000000011BC0: 02242596
	v_add_f32_e32 v18, v151, v18                               // 000000011BC4: 02242597
	v_add_f32_e32 v18, v152, v18                               // 000000011BC8: 02242598
	v_add_f32_e32 v18, v153, v18                               // 000000011BCC: 02242599
	v_add_f32_e32 v18, v154, v18                               // 000000011BD0: 0224259A
	v_add_f32_e32 v18, v155, v18                               // 000000011BD4: 0224259B
	v_add_f32_e32 v18, v156, v18                               // 000000011BD8: 0224259C
	v_add_f32_e32 v18, v157, v18                               // 000000011BDC: 0224259D
	v_add_f32_e32 v18, v158, v18                               // 000000011BE0: 0224259E
	v_add_f32_e32 v18, v159, v18                               // 000000011BE4: 0224259F
	v_add_f32_e32 v48, v18, v48                                // 000000011BE8: 02606112
	s_waitcnt lgkmcnt(0)                                       // 000000011BEC: BF8CC07F
	v_max3_f32 v62, |v80|, |v81|, v62                          // 000000011BF0: D1D3033E 04FAA350
	v_max3_f32 v62, |v82|, |v83|, v62                          // 000000011BF8: D1D3033E 04FAA752
	v_max3_f32 v62, |v84|, |v85|, v62                          // 000000011C00: D1D3033E 04FAAB54
	v_max3_f32 v62, |v86|, |v87|, v62                          // 000000011C08: D1D3033E 04FAAF56
	v_max3_f32 v62, |v88|, |v89|, v62                          // 000000011C10: D1D3033E 04FAB358
	v_max3_f32 v62, |v90|, |v91|, v62                          // 000000011C18: D1D3033E 04FAB75A
	v_max3_f32 v62, |v92|, |v93|, v62                          // 000000011C20: D1D3033E 04FABB5C
	v_max3_f32 v62, |v94|, |v95|, v62                          // 000000011C28: D1D3033E 04FABF5E
	s_nop 2                                                    // 000000011C30: BF800002
	v_rcp_f32_e32 v62, v62                                     // 000000011C34: 7E7C453E
	s_nop 1                                                    // 000000011C38: BF800001
	v_mul_f32_e32 v62, 0x42fe0000, v62                         // 000000011C3C: 0A7C7CFF 42FE0000
	v_mul_f32_e32 v144, v62, v240                              // 000000011C44: 0B21E13E
	v_mul_f32_e32 v145, v62, v241                              // 000000011C48: 0B23E33E
	v_mul_f32_e32 v146, v62, v242                              // 000000011C4C: 0B25E53E
	v_mul_f32_e32 v147, v62, v243                              // 000000011C50: 0B27E73E
	v_mul_f32_e32 v148, v62, v244                              // 000000011C54: 0B29E93E
	v_mul_f32_e32 v149, v62, v245                              // 000000011C58: 0B2BEB3E
	v_mul_f32_e32 v150, v62, v246                              // 000000011C5C: 0B2DED3E
	v_mul_f32_e32 v151, v62, v247                              // 000000011C60: 0B2FEF3E
	v_mul_f32_e32 v152, v62, v248                              // 000000011C64: 0B31F13E
	v_mul_f32_e32 v153, v62, v249                              // 000000011C68: 0B33F33E
	v_mul_f32_e32 v154, v62, v250                              // 000000011C6C: 0B35F53E
	v_mul_f32_e32 v155, v62, v251                              // 000000011C70: 0B37F73E
	v_mul_f32_e32 v156, v62, v252                              // 000000011C74: 0B39F93E
	v_mul_f32_e32 v157, v62, v253                              // 000000011C78: 0B3BFB3E
	v_mul_f32_e32 v158, v62, v254                              // 000000011C7C: 0B3DFD3E
	v_mul_f32_e32 v159, v62, v255                              // 000000011C80: 0B3FFF3E
	v_cvt_i32_f32_e32 v144, v144                               // 000000011C84: 7F201190
	v_cvt_i32_f32_e32 v145, v145                               // 000000011C88: 7F221191
	v_cvt_i32_f32_e32 v146, v146                               // 000000011C8C: 7F241192
	v_cvt_i32_f32_e32 v147, v147                               // 000000011C90: 7F261193
	v_cvt_i32_f32_e32 v148, v148                               // 000000011C94: 7F281194
	v_cvt_i32_f32_e32 v149, v149                               // 000000011C98: 7F2A1195
	v_cvt_i32_f32_e32 v150, v150                               // 000000011C9C: 7F2C1196
	v_cvt_i32_f32_e32 v151, v151                               // 000000011CA0: 7F2E1197
	v_cvt_i32_f32_e32 v152, v152                               // 000000011CA4: 7F301198
	v_cvt_i32_f32_e32 v153, v153                               // 000000011CA8: 7F321199
	v_cvt_i32_f32_e32 v154, v154                               // 000000011CAC: 7F34119A
	v_cvt_i32_f32_e32 v155, v155                               // 000000011CB0: 7F36119B
	v_cvt_i32_f32_e32 v156, v156                               // 000000011CB4: 7F38119C
	v_cvt_i32_f32_e32 v157, v157                               // 000000011CB8: 7F3A119D
	v_cvt_i32_f32_e32 v158, v158                               // 000000011CBC: 7F3C119E
	v_cvt_i32_f32_e32 v159, v159                               // 000000011CC0: 7F3E119F
	v_perm_b32 v144, v145, v144, s53                           // 000000011CC4: D1ED0090 00D72191
	v_perm_b32 v144, v146, v144, s54                           // 000000011CCC: D1ED0090 00DB2192
	v_perm_b32 v144, v147, v144, s55                           // 000000011CD4: D1ED0090 00DF2193
	v_perm_b32 v145, v149, v148, s53                           // 000000011CDC: D1ED0091 00D72995
	v_perm_b32 v145, v150, v145, s54                           // 000000011CE4: D1ED0091 00DB2396
	v_perm_b32 v145, v151, v145, s55                           // 000000011CEC: D1ED0091 00DF2397
	v_perm_b32 v146, v153, v152, s53                           // 000000011CF4: D1ED0092 00D73199
	v_perm_b32 v146, v154, v146, s54                           // 000000011CFC: D1ED0092 00DB259A
	v_perm_b32 v146, v155, v146, s55                           // 000000011D04: D1ED0092 00DF259B
	v_perm_b32 v147, v157, v156, s53                           // 000000011D0C: D1ED0093 00D7399D
	v_perm_b32 v147, v158, v147, s54                           // 000000011D14: D1ED0093 00DB279E
	v_perm_b32 v147, v159, v147, s55                           // 000000011D1C: D1ED0093 00DF279F
	ds_write_b32 v13, v144 offset:29184                        // 000000011D24: D81A7200 0000900D
	ds_write_b32 v13, v145 offset:30208                        // 000000011D2C: D81A7600 0000910D
	ds_write_b32 v13, v146 offset:31232                        // 000000011D34: D81A7A00 0000920D
	ds_write_b32 v13, v147 offset:32256                        // 000000011D3C: D81A7E00 0000930D
	v_add_f32_e32 v232, v232, v200                             // 000000011D44: 03D191E8
	v_add_f32_e32 v233, v233, v201                             // 000000011D48: 03D393E9
	v_add_f32_e32 v234, v234, v202                             // 000000011D4C: 03D595EA
	v_add_f32_e32 v235, v235, v203                             // 000000011D50: 03D797EB
	v_add_f32_e32 v236, v236, v204                             // 000000011D54: 03D999EC
	v_add_f32_e32 v237, v237, v205                             // 000000011D58: 03DB9BED
	v_add_f32_e32 v238, v238, v206                             // 000000011D5C: 03DD9DEE
	v_add_f32_e32 v239, v239, v207                             // 000000011D60: 03DF9FEF
	v_rcp_f32_e32 v59, v62                                     // 000000011D64: 7E76453E
	s_waitcnt lgkmcnt(0)                                       // 000000011D68: BF8CC07F
	s_barrier                                                  // 000000011D6C: BF8A0000
	ds_read_b64 v[144:145], v12 offset:29184                   // 000000011D70: D8EC7200 9000000C
	ds_read_b64 v[146:147], v12 offset:29312                   // 000000011D78: D8EC7280 9200000C
	ds_read_b64 v[148:149], v12 offset:30208                   // 000000011D80: D8EC7600 9400000C
	ds_read_b64 v[150:151], v12 offset:30336                   // 000000011D88: D8EC7680 9600000C
	ds_read_b64 v[152:153], v12 offset:31232                   // 000000011D90: D8EC7A00 9800000C
	ds_read_b64 v[154:155], v12 offset:31360                   // 000000011D98: D8EC7A80 9A00000C
	ds_read_b64 v[156:157], v12 offset:32256                   // 000000011DA0: D8EC7E00 9C00000C
	ds_read_b64 v[158:159], v12 offset:32384                   // 000000011DA8: D8EC7E80 9E00000C
	s_waitcnt vmcnt(0)                                         // 000000011DB0: BF8C0F70
	s_barrier                                                  // 000000011DB4: BF8A0000
	v_mfma_i32_16x16x32_i8 v[192:195], a[96:97], v[128:129], 0 // 000000011DB8: D3D700C0 0A030160
	v_mfma_i32_16x16x32_i8 v[192:195], a[98:99], v[130:131], v[192:195]// 000000011DC0: D3D700C0 0F030562
	v_mfma_i32_16x16x32_i8 v[192:195], a[100:101], v[132:133], v[192:195]// 000000011DC8: D3D700C0 0F030964
	v_mfma_i32_16x16x32_i8 v[192:195], a[102:103], v[134:135], v[192:195]// 000000011DD0: D3D700C0 0F030D66
	v_mfma_i32_16x16x32_i8 v[192:195], a[104:105], v[136:137], v[192:195]// 000000011DD8: D3D700C0 0F031168
	v_mfma_i32_16x16x32_i8 v[192:195], a[106:107], v[138:139], v[192:195]// 000000011DE0: D3D700C0 0F03156A
	v_mfma_i32_16x16x32_i8 v[192:195], a[108:109], v[140:141], v[192:195]// 000000011DE8: D3D700C0 0F03196C
	v_mfma_i32_16x16x32_i8 v[192:195], a[110:111], v[142:143], v[192:195]// 000000011DF0: D3D700C0 0F031D6E
	v_mfma_i32_16x16x32_i8 v[196:199], a[112:113], v[128:129], 0// 000000011DF8: D3D700C4 0A030170
	v_mfma_i32_16x16x32_i8 v[196:199], a[114:115], v[130:131], v[196:199]// 000000011E00: D3D700C4 0F130572
	v_mfma_i32_16x16x32_i8 v[196:199], a[116:117], v[132:133], v[196:199]// 000000011E08: D3D700C4 0F130974
	v_mfma_i32_16x16x32_i8 v[196:199], a[118:119], v[134:135], v[196:199]// 000000011E10: D3D700C4 0F130D76
	v_mfma_i32_16x16x32_i8 v[196:199], a[120:121], v[136:137], v[196:199]// 000000011E18: D3D700C4 0F131178
	v_mfma_i32_16x16x32_i8 v[196:199], a[122:123], v[138:139], v[196:199]// 000000011E20: D3D700C4 0F13157A
	v_mfma_i32_16x16x32_i8 v[196:199], a[124:125], v[140:141], v[196:199]// 000000011E28: D3D700C4 0F13197C
	v_mfma_i32_16x16x32_i8 v[196:199], a[126:127], v[142:143], v[196:199]// 000000011E30: D3D700C4 0F131D7E
	v_mfma_i32_16x16x32_i8 v[200:203], a[96:97], v[144:145], 0 // 000000011E38: D3D700C8 0A032160
	v_mfma_i32_16x16x32_i8 v[200:203], a[98:99], v[146:147], v[200:203]// 000000011E40: D3D700C8 0F232562
	v_mfma_i32_16x16x32_i8 v[200:203], a[100:101], v[148:149], v[200:203]// 000000011E48: D3D700C8 0F232964
	v_mfma_i32_16x16x32_i8 v[200:203], a[102:103], v[150:151], v[200:203]// 000000011E50: D3D700C8 0F232D66
	v_mfma_i32_16x16x32_i8 v[200:203], a[104:105], v[152:153], v[200:203]// 000000011E58: D3D700C8 0F233168
	v_mfma_i32_16x16x32_i8 v[200:203], a[106:107], v[154:155], v[200:203]// 000000011E60: D3D700C8 0F23356A
	v_mfma_i32_16x16x32_i8 v[200:203], a[108:109], v[156:157], v[200:203]// 000000011E68: D3D700C8 0F23396C
	v_mfma_i32_16x16x32_i8 v[200:203], a[110:111], v[158:159], v[200:203]// 000000011E70: D3D700C8 0F233D6E
	v_mfma_i32_16x16x32_i8 v[204:207], a[112:113], v[144:145], 0// 000000011E78: D3D700CC 0A032170
	v_mfma_i32_16x16x32_i8 v[204:207], a[114:115], v[146:147], v[204:207]// 000000011E80: D3D700CC 0F332572
	v_mfma_i32_16x16x32_i8 v[204:207], a[116:117], v[148:149], v[204:207]// 000000011E88: D3D700CC 0F332974
	v_mfma_i32_16x16x32_i8 v[204:207], a[118:119], v[150:151], v[204:207]// 000000011E90: D3D700CC 0F332D76
	v_mfma_i32_16x16x32_i8 v[204:207], a[120:121], v[152:153], v[204:207]// 000000011E98: D3D700CC 0F333178
	v_mfma_i32_16x16x32_i8 v[204:207], a[122:123], v[154:155], v[204:207]// 000000011EA0: D3D700CC 0F33357A
	v_mfma_i32_16x16x32_i8 v[204:207], a[124:125], v[156:157], v[204:207]// 000000011EA8: D3D700CC 0F33397C
	v_mfma_i32_16x16x32_i8 v[204:207], a[126:127], v[158:159], v[204:207]// 000000011EB0: D3D700CC 0F333D7E
	s_nop 4                                                    // 000000011EB8: BF800004
	s_branch label_3F30                                        // 000000011EBC: BF820000

0000000000011ec0 <label_3F30>:
	s_mov_b32 s60, 0xa0                                        // 000000011EC0: BEBC00FF 000000A0
	s_cmp_eq_i32 s88, s60                                      // 000000011EC8: BF003C58
	s_cbranch_scc1 label_4071                                  // 000000011ECC: BF85013D
	v_mul_f32_e32 v224, v63, v224                              // 000000011ED0: 0BC1C13F
	v_mul_f32_e32 v225, v63, v225                              // 000000011ED4: 0BC3C33F
	v_mul_f32_e32 v226, v63, v226                              // 000000011ED8: 0BC5C53F
	v_mul_f32_e32 v227, v63, v227                              // 000000011EDC: 0BC7C73F
	v_mul_f32_e32 v228, v63, v228                              // 000000011EE0: 0BC9C93F
	v_mul_f32_e32 v229, v63, v229                              // 000000011EE4: 0BCBCB3F
	v_mul_f32_e32 v230, v63, v230                              // 000000011EE8: 0BCDCD3F
	v_mul_f32_e32 v231, v63, v231                              // 000000011EEC: 0BCFCF3F
	v_cvt_f32_i32_e32 v192, v192                               // 000000011EF0: 7F800BC0
	v_cvt_f32_i32_e32 v193, v193                               // 000000011EF4: 7F820BC1
	v_cvt_f32_i32_e32 v194, v194                               // 000000011EF8: 7F840BC2
	v_cvt_f32_i32_e32 v195, v195                               // 000000011EFC: 7F860BC3
	v_cvt_f32_i32_e32 v196, v196                               // 000000011F00: 7F880BC4
	v_cvt_f32_i32_e32 v197, v197                               // 000000011F04: 7F8A0BC5
	v_cvt_f32_i32_e32 v198, v198                               // 000000011F08: 7F8C0BC6
	v_cvt_f32_i32_e32 v199, v199                               // 000000011F0C: 7F8E0BC7
	v_mul_f32_e32 v192, v58, v192                              // 000000011F10: 0B81813A
	v_mul_f32_e32 v193, v58, v193                              // 000000011F14: 0B83833A
	v_mul_f32_e32 v194, v58, v194                              // 000000011F18: 0B85853A
	v_mul_f32_e32 v195, v58, v195                              // 000000011F1C: 0B87873A
	v_mul_f32_e32 v196, v58, v196                              // 000000011F20: 0B89893A
	v_mul_f32_e32 v197, v58, v197                              // 000000011F24: 0B8B8B3A
	v_mul_f32_e32 v198, v58, v198                              // 000000011F28: 0B8D8D3A
	v_mul_f32_e32 v199, v58, v199                              // 000000011F2C: 0B8F8F3A
	v_add_f32_e32 v224, v224, v192                             // 000000011F30: 03C181E0
	v_add_f32_e32 v225, v225, v193                             // 000000011F34: 03C383E1
	v_add_f32_e32 v226, v226, v194                             // 000000011F38: 03C585E2
	v_add_f32_e32 v227, v227, v195                             // 000000011F3C: 03C787E3
	v_add_f32_e32 v228, v228, v196                             // 000000011F40: 03C989E4
	v_add_f32_e32 v229, v229, v197                             // 000000011F44: 03CB8BE5
	v_add_f32_e32 v230, v230, v198                             // 000000011F48: 03CD8DE6
	v_add_f32_e32 v231, v231, v199                             // 000000011F4C: 03CF8FE7
	ds_write_b32 v11, v47 offset:16896                         // 000000011F50: D81A4200 00002F0B
	s_waitcnt lgkmcnt(0)                                       // 000000011F58: BF8CC07F
	s_barrier                                                  // 000000011F5C: BF8A0000
	ds_read_b32 v80, v10 offset:16896                          // 000000011F60: D86C4200 5000000A
	ds_read_b32 v81, v10 offset:16960                          // 000000011F68: D86C4240 5100000A
	ds_read_b32 v82, v10 offset:17024                          // 000000011F70: D86C4280 5200000A
	ds_read_b32 v83, v10 offset:17088                          // 000000011F78: D86C42C0 5300000A
	ds_read_b32 v84, v10 offset:17152                          // 000000011F80: D86C4300 5400000A
	ds_read_b32 v85, v10 offset:17216                          // 000000011F88: D86C4340 5500000A
	ds_read_b32 v86, v10 offset:17280                          // 000000011F90: D86C4380 5600000A
	ds_read_b32 v87, v10 offset:17344                          // 000000011F98: D86C43C0 5700000A
	ds_read_b32 v88, v10 offset:17408                          // 000000011FA0: D86C4400 5800000A
	ds_read_b32 v89, v10 offset:17472                          // 000000011FA8: D86C4440 5900000A
	ds_read_b32 v90, v10 offset:17536                          // 000000011FB0: D86C4480 5A00000A
	ds_read_b32 v91, v10 offset:17600                          // 000000011FB8: D86C44C0 5B00000A
	ds_read_b32 v92, v10 offset:17664                          // 000000011FC0: D86C4500 5C00000A
	ds_read_b32 v93, v10 offset:17728                          // 000000011FC8: D86C4540 5D00000A
	ds_read_b32 v94, v10 offset:17792                          // 000000011FD0: D86C4580 5E00000A
	ds_read_b32 v95, v10 offset:17856                          // 000000011FD8: D86C45C0 5F00000A
	s_waitcnt lgkmcnt(0)                                       // 000000011FE0: BF8CC07F
	v_mov_b32_e32 v47, 0                                       // 000000011FE4: 7E5E0280
	v_add_f32_e32 v47, v80, v47                                // 000000011FE8: 025E5F50
	v_add_f32_e32 v47, v81, v47                                // 000000011FEC: 025E5F51
	v_add_f32_e32 v47, v82, v47                                // 000000011FF0: 025E5F52
	v_add_f32_e32 v47, v83, v47                                // 000000011FF4: 025E5F53
	v_add_f32_e32 v47, v84, v47                                // 000000011FF8: 025E5F54
	v_add_f32_e32 v47, v85, v47                                // 000000011FFC: 025E5F55
	v_add_f32_e32 v47, v86, v47                                // 000000012000: 025E5F56
	v_add_f32_e32 v47, v87, v47                                // 000000012004: 025E5F57
	v_add_f32_e32 v47, v88, v47                                // 000000012008: 025E5F58
	v_add_f32_e32 v47, v89, v47                                // 00000001200C: 025E5F59
	v_add_f32_e32 v47, v90, v47                                // 000000012010: 025E5F5A
	v_add_f32_e32 v47, v91, v47                                // 000000012014: 025E5F5B
	v_add_f32_e32 v47, v92, v47                                // 000000012018: 025E5F5C
	v_add_f32_e32 v47, v93, v47                                // 00000001201C: 025E5F5D
	v_add_f32_e32 v47, v94, v47                                // 000000012020: 025E5F5E
	v_add_f32_e32 v47, v95, v47                                // 000000012024: 025E5F5F
	s_nop 1                                                    // 000000012028: BF800001
	v_rcp_f32_e32 v47, v47                                     // 00000001202C: 7E5E452F
	s_nop 1                                                    // 000000012030: BF800001
	v_mul_f32_e32 v224, v47, v224                              // 000000012034: 0BC1C12F
	v_mul_f32_e32 v225, v47, v225                              // 000000012038: 0BC3C32F
	v_mul_f32_e32 v226, v47, v226                              // 00000001203C: 0BC5C52F
	v_mul_f32_e32 v227, v47, v227                              // 000000012040: 0BC7C72F
	v_mul_f32_e32 v228, v47, v228                              // 000000012044: 0BC9C92F
	v_mul_f32_e32 v229, v47, v229                              // 000000012048: 0BCBCB2F
	v_mul_f32_e32 v230, v47, v230                              // 00000001204C: 0BCDCD2F
	v_mul_f32_e32 v231, v47, v231                              // 000000012050: 0BCFCF2F
	v_cvt_pkrtz_f16_f32 v41, v224, v225                        // 000000012054: D2960029 0003C3E0
	v_mov_b32_e32 v224, v41                                    // 00000001205C: 7FC00329
	v_cvt_pkrtz_f16_f32 v41, v226, v227                        // 000000012060: D2960029 0003C7E2
	v_mov_b32_e32 v225, v41                                    // 000000012068: 7FC20329
	v_cvt_pkrtz_f16_f32 v41, v228, v229                        // 00000001206C: D2960029 0003CBE4
	v_mov_b32_e32 v226, v41                                    // 000000012074: 7FC40329
	v_cvt_pkrtz_f16_f32 v41, v230, v231                        // 000000012078: D2960029 0003CFE6
	v_mov_b32_e32 v227, v41                                    // 000000012080: 7FC60329
	s_nop 1                                                    // 000000012084: BF800001
	v_lshrrev_b32_e32 v41, 4, v0                               // 000000012088: 20520084
	v_mul_i32_i24_e32 v45, 34, v41                             // 00000001208C: 0C5A52A2
	v_and_b32_e32 v41, 15, v0                                  // 000000012090: 2652008F
	v_mul_i32_i24_e32 v42, 2, v41                              // 000000012094: 0C545282
	v_add_u32_e32 v45, v42, v45                                // 000000012098: 685A5B2A
	s_mul_i32 s60, s7, 0x88                                    // 00000001209C: 923CFF07 00000088
	v_add_u32_e32 v45, s60, v45                                // 0000000120A4: 685A5A3C
	v_lshlrev_b32_e32 v45, 2, v45                              // 0000000120A8: 245A5A82
	ds_write_b64 v45, v[224:225] offset:41472                  // 0000000120AC: D89AA200 0000E02D
	ds_write_b64 v45, v[226:227] offset:43648                  // 0000000120B4: D89AAA80 0000E22D
	v_lshrrev_b32_e32 v41, 1, v0                               // 0000000120BC: 20520081
	v_mul_i32_i24_e32 v45, 34, v41                             // 0000000120C0: 0C5A52A2
	v_and_b32_e32 v42, 1, v0                                   // 0000000120C4: 26540081
	v_add_u32_e32 v45, v42, v45                                // 0000000120C8: 685A5B2A
	s_mul_i32 s60, s7, 2                                       // 0000000120CC: 923C8207
	v_add_u32_e32 v45, s60, v45                                // 0000000120D0: 685A5A3C
	v_lshlrev_b32_e32 v45, 2, v45                              // 0000000120D4: 245A5A82
	s_waitcnt lgkmcnt(0)                                       // 0000000120D8: BF8CC07F
	s_barrier                                                  // 0000000120DC: BF8A0000
	ds_read_b32 v224, v45 offset:41472                         // 0000000120E0: D86CA200 E000002D
	ds_read_b32 v225, v45 offset:41504                         // 0000000120E8: D86CA220 E100002D
	ds_read_b32 v226, v45 offset:41536                         // 0000000120F0: D86CA240 E200002D
	ds_read_b32 v227, v45 offset:41568                         // 0000000120F8: D86CA260 E300002D
	s_mul_i32 s60, s7, 0x100                                   // 000000012100: 923CFF07 00000100
	v_lshlrev_b32_e32 v41, 2, v0                               // 000000012108: 24520082
	v_add_u32_e64 v41, v41, s60                                // 00000001210C: D1340029 00007929
	s_waitcnt lgkmcnt(0)                                       // 000000012114: BF8CC07F
	buffer_store_dword v224, v41, s[8:11], 0 offen             // 000000012118: E0701000 8002E029
	buffer_store_dword v225, v41, s[8:11], 0 offen offset:1024 // 000000012120: E0701400 8002E129
	s_add_u32 s8, s75, s8                                      // 000000012128: 8008084B
	s_addc_u32 s9, 0, s9                                       // 00000001212C: 82090980
	buffer_store_dword v226, v41, s[8:11], 0 offen             // 000000012130: E0701000 8002E229
	buffer_store_dword v227, v41, s[8:11], 0 offen offset:1024 // 000000012138: E0701400 8002E329
	s_add_u32 s8, s75, s8                                      // 000000012140: 8008084B
	s_addc_u32 s9, 0, s9                                       // 000000012144: 82090980
	v_mul_f32_e32 v232, v64, v232                              // 000000012148: 0BD1D140
	v_mul_f32_e32 v233, v64, v233                              // 00000001214C: 0BD3D340
	v_mul_f32_e32 v234, v64, v234                              // 000000012150: 0BD5D540
	v_mul_f32_e32 v235, v64, v235                              // 000000012154: 0BD7D740
	v_mul_f32_e32 v236, v64, v236                              // 000000012158: 0BD9D940
	v_mul_f32_e32 v237, v64, v237                              // 00000001215C: 0BDBDB40
	v_mul_f32_e32 v238, v64, v238                              // 000000012160: 0BDDDD40
	v_mul_f32_e32 v239, v64, v239                              // 000000012164: 0BDFDF40
	v_cvt_f32_i32_e32 v200, v200                               // 000000012168: 7F900BC8
	v_cvt_f32_i32_e32 v201, v201                               // 00000001216C: 7F920BC9
	v_cvt_f32_i32_e32 v202, v202                               // 000000012170: 7F940BCA
	v_cvt_f32_i32_e32 v203, v203                               // 000000012174: 7F960BCB
	v_cvt_f32_i32_e32 v204, v204                               // 000000012178: 7F980BCC
	v_cvt_f32_i32_e32 v205, v205                               // 00000001217C: 7F9A0BCD
	v_cvt_f32_i32_e32 v206, v206                               // 000000012180: 7F9C0BCE
	v_cvt_f32_i32_e32 v207, v207                               // 000000012184: 7F9E0BCF
	v_mul_f32_e32 v200, v59, v200                              // 000000012188: 0B91913B
	v_mul_f32_e32 v201, v59, v201                              // 00000001218C: 0B93933B
	v_mul_f32_e32 v202, v59, v202                              // 000000012190: 0B95953B
	v_mul_f32_e32 v203, v59, v203                              // 000000012194: 0B97973B
	v_mul_f32_e32 v204, v59, v204                              // 000000012198: 0B99993B
	v_mul_f32_e32 v205, v59, v205                              // 00000001219C: 0B9B9B3B
	v_mul_f32_e32 v206, v59, v206                              // 0000000121A0: 0B9D9D3B
	v_mul_f32_e32 v207, v59, v207                              // 0000000121A4: 0B9F9F3B
	v_add_f32_e32 v232, v232, v200                             // 0000000121A8: 03D191E8
	v_add_f32_e32 v233, v233, v201                             // 0000000121AC: 03D393E9
	v_add_f32_e32 v234, v234, v202                             // 0000000121B0: 03D595EA
	v_add_f32_e32 v235, v235, v203                             // 0000000121B4: 03D797EB
	v_add_f32_e32 v236, v236, v204                             // 0000000121B8: 03D999EC
	v_add_f32_e32 v237, v237, v205                             // 0000000121BC: 03DB9BED
	v_add_f32_e32 v238, v238, v206                             // 0000000121C0: 03DD9DEE
	v_add_f32_e32 v239, v239, v207                             // 0000000121C4: 03DF9FEF
	ds_write_b32 v11, v48 offset:16896                         // 0000000121C8: D81A4200 0000300B
	s_waitcnt lgkmcnt(0)                                       // 0000000121D0: BF8CC07F
	s_barrier                                                  // 0000000121D4: BF8A0000
	ds_read_b32 v80, v10 offset:16896                          // 0000000121D8: D86C4200 5000000A
	ds_read_b32 v81, v10 offset:16960                          // 0000000121E0: D86C4240 5100000A
	ds_read_b32 v82, v10 offset:17024                          // 0000000121E8: D86C4280 5200000A
	ds_read_b32 v83, v10 offset:17088                          // 0000000121F0: D86C42C0 5300000A
	ds_read_b32 v84, v10 offset:17152                          // 0000000121F8: D86C4300 5400000A
	ds_read_b32 v85, v10 offset:17216                          // 000000012200: D86C4340 5500000A
	ds_read_b32 v86, v10 offset:17280                          // 000000012208: D86C4380 5600000A
	ds_read_b32 v87, v10 offset:17344                          // 000000012210: D86C43C0 5700000A
	ds_read_b32 v88, v10 offset:17408                          // 000000012218: D86C4400 5800000A
	ds_read_b32 v89, v10 offset:17472                          // 000000012220: D86C4440 5900000A
	ds_read_b32 v90, v10 offset:17536                          // 000000012228: D86C4480 5A00000A
	ds_read_b32 v91, v10 offset:17600                          // 000000012230: D86C44C0 5B00000A
	ds_read_b32 v92, v10 offset:17664                          // 000000012238: D86C4500 5C00000A
	ds_read_b32 v93, v10 offset:17728                          // 000000012240: D86C4540 5D00000A
	ds_read_b32 v94, v10 offset:17792                          // 000000012248: D86C4580 5E00000A
	ds_read_b32 v95, v10 offset:17856                          // 000000012250: D86C45C0 5F00000A
	s_waitcnt lgkmcnt(0)                                       // 000000012258: BF8CC07F
	v_mov_b32_e32 v48, 0                                       // 00000001225C: 7E600280
	v_add_f32_e32 v48, v80, v48                                // 000000012260: 02606150
	v_add_f32_e32 v48, v81, v48                                // 000000012264: 02606151
	;; [unrolled: 1-line block ×3, first 2 shown]
	v_add_f32_e32 v48, v83, v48                                // 00000001226C: 02606153
	v_add_f32_e32 v48, v84, v48                                // 000000012270: 02606154
	v_add_f32_e32 v48, v85, v48                                // 000000012274: 02606155
	;; [unrolled: 1-line block ×3, first 2 shown]
	v_add_f32_e32 v48, v87, v48                                // 00000001227C: 02606157
	v_add_f32_e32 v48, v88, v48                                // 000000012280: 02606158
	v_add_f32_e32 v48, v89, v48                                // 000000012284: 02606159
	v_add_f32_e32 v48, v90, v48                                // 000000012288: 0260615A
	v_add_f32_e32 v48, v91, v48                                // 00000001228C: 0260615B
	v_add_f32_e32 v48, v92, v48                                // 000000012290: 0260615C
	v_add_f32_e32 v48, v93, v48                                // 000000012294: 0260615D
	v_add_f32_e32 v48, v94, v48                                // 000000012298: 0260615E
	v_add_f32_e32 v48, v95, v48                                // 00000001229C: 0260615F
	s_nop 1                                                    // 0000000122A0: BF800001
	v_rcp_f32_e32 v48, v48                                     // 0000000122A4: 7E604530
	s_nop 1                                                    // 0000000122A8: BF800001
	v_mul_f32_e32 v232, v48, v232                              // 0000000122AC: 0BD1D130
	v_mul_f32_e32 v233, v48, v233                              // 0000000122B0: 0BD3D330
	v_mul_f32_e32 v234, v48, v234                              // 0000000122B4: 0BD5D530
	v_mul_f32_e32 v235, v48, v235                              // 0000000122B8: 0BD7D730
	v_mul_f32_e32 v236, v48, v236                              // 0000000122BC: 0BD9D930
	v_mul_f32_e32 v237, v48, v237                              // 0000000122C0: 0BDBDB30
	v_mul_f32_e32 v238, v48, v238                              // 0000000122C4: 0BDDDD30
	v_mul_f32_e32 v239, v48, v239                              // 0000000122C8: 0BDFDF30
	v_cvt_pkrtz_f16_f32 v41, v232, v233                        // 0000000122CC: D2960029 0003D3E8
	v_mov_b32_e32 v232, v41                                    // 0000000122D4: 7FD00329
	v_cvt_pkrtz_f16_f32 v41, v234, v235                        // 0000000122D8: D2960029 0003D7EA
	v_mov_b32_e32 v233, v41                                    // 0000000122E0: 7FD20329
	v_cvt_pkrtz_f16_f32 v41, v236, v237                        // 0000000122E4: D2960029 0003DBEC
	v_mov_b32_e32 v234, v41                                    // 0000000122EC: 7FD40329
	v_cvt_pkrtz_f16_f32 v41, v238, v239                        // 0000000122F0: D2960029 0003DFEE
	v_mov_b32_e32 v235, v41                                    // 0000000122F8: 7FD60329
	s_nop 1                                                    // 0000000122FC: BF800001
	v_lshrrev_b32_e32 v41, 4, v0                               // 000000012300: 20520084
	v_mul_i32_i24_e32 v45, 34, v41                             // 000000012304: 0C5A52A2
	v_and_b32_e32 v41, 15, v0                                  // 000000012308: 2652008F
	v_mul_i32_i24_e32 v42, 2, v41                              // 00000001230C: 0C545282
	v_add_u32_e32 v45, v42, v45                                // 000000012310: 685A5B2A
	s_mul_i32 s60, s7, 0x88                                    // 000000012314: 923CFF07 00000088
	v_add_u32_e32 v45, s60, v45                                // 00000001231C: 685A5A3C
	v_lshlrev_b32_e32 v45, 2, v45                              // 000000012320: 245A5A82
	ds_write_b64 v45, v[232:233] offset:41472                  // 000000012324: D89AA200 0000E82D
	ds_write_b64 v45, v[234:235] offset:43648                  // 00000001232C: D89AAA80 0000EA2D
	v_lshrrev_b32_e32 v41, 1, v0                               // 000000012334: 20520081
	v_mul_i32_i24_e32 v45, 34, v41                             // 000000012338: 0C5A52A2
	v_and_b32_e32 v42, 1, v0                                   // 00000001233C: 26540081
	v_add_u32_e32 v45, v42, v45                                // 000000012340: 685A5B2A
	s_mul_i32 s60, s7, 2                                       // 000000012344: 923C8207
	v_add_u32_e32 v45, s60, v45                                // 000000012348: 685A5A3C
	v_lshlrev_b32_e32 v45, 2, v45                              // 00000001234C: 245A5A82
	s_waitcnt lgkmcnt(0)                                       // 000000012350: BF8CC07F
	s_barrier                                                  // 000000012354: BF8A0000
	ds_read_b32 v232, v45 offset:41472                         // 000000012358: D86CA200 E800002D
	ds_read_b32 v233, v45 offset:41504                         // 000000012360: D86CA220 E900002D
	ds_read_b32 v234, v45 offset:41536                         // 000000012368: D86CA240 EA00002D
	ds_read_b32 v235, v45 offset:41568                         // 000000012370: D86CA260 EB00002D
	s_mul_i32 s60, s7, 0x100                                   // 000000012378: 923CFF07 00000100
	v_lshlrev_b32_e32 v41, 2, v0                               // 000000012380: 24520082
	v_add_u32_e64 v41, v41, s60                                // 000000012384: D1340029 00007929
	s_waitcnt lgkmcnt(0)                                       // 00000001238C: BF8CC07F
	buffer_store_dword v232, v41, s[8:11], 0 offen             // 000000012390: E0701000 8002E829
	buffer_store_dword v233, v41, s[8:11], 0 offen offset:1024 // 000000012398: E0701400 8002E929
	s_add_u32 s8, s75, s8                                      // 0000000123A0: 8008084B
	s_addc_u32 s9, 0, s9                                       // 0000000123A4: 82090980
	buffer_store_dword v234, v41, s[8:11], 0 offen             // 0000000123A8: E0701000 8002EA29
	buffer_store_dword v235, v41, s[8:11], 0 offen offset:1024 // 0000000123B0: E0701400 8002EB29
	s_add_u32 s8, s75, s8                                      // 0000000123B8: 8008084B
	s_addc_u32 s9, 0, s9                                       // 0000000123BC: 82090980
	s_branch label_41A4                                        // 0000000123C0: BF820133

00000000000123c4 <label_4071>:
	v_mul_f32_e32 v224, v63, v224                              // 0000000123C4: 0BC1C13F
	v_mul_f32_e32 v225, v63, v225                              // 0000000123C8: 0BC3C33F
	v_mul_f32_e32 v226, v63, v226                              // 0000000123CC: 0BC5C53F
	v_mul_f32_e32 v227, v63, v227                              // 0000000123D0: 0BC7C73F
	v_mul_f32_e32 v228, v63, v228                              // 0000000123D4: 0BC9C93F
	v_mul_f32_e32 v229, v63, v229                              // 0000000123D8: 0BCBCB3F
	v_mul_f32_e32 v230, v63, v230                              // 0000000123DC: 0BCDCD3F
	v_mul_f32_e32 v231, v63, v231                              // 0000000123E0: 0BCFCF3F
	v_cvt_f32_i32_e32 v192, v192                               // 0000000123E4: 7F800BC0
	v_cvt_f32_i32_e32 v193, v193                               // 0000000123E8: 7F820BC1
	v_cvt_f32_i32_e32 v194, v194                               // 0000000123EC: 7F840BC2
	v_cvt_f32_i32_e32 v195, v195                               // 0000000123F0: 7F860BC3
	v_cvt_f32_i32_e32 v196, v196                               // 0000000123F4: 7F880BC4
	v_cvt_f32_i32_e32 v197, v197                               // 0000000123F8: 7F8A0BC5
	v_cvt_f32_i32_e32 v198, v198                               // 0000000123FC: 7F8C0BC6
	v_cvt_f32_i32_e32 v199, v199                               // 000000012400: 7F8E0BC7
	v_mul_f32_e32 v192, v58, v192                              // 000000012404: 0B81813A
	v_mul_f32_e32 v193, v58, v193                              // 000000012408: 0B83833A
	v_mul_f32_e32 v194, v58, v194                              // 00000001240C: 0B85853A
	v_mul_f32_e32 v195, v58, v195                              // 000000012410: 0B87873A
	v_mul_f32_e32 v196, v58, v196                              // 000000012414: 0B89893A
	v_mul_f32_e32 v197, v58, v197                              // 000000012418: 0B8B8B3A
	v_mul_f32_e32 v198, v58, v198                              // 00000001241C: 0B8D8D3A
	v_mul_f32_e32 v199, v58, v199                              // 000000012420: 0B8F8F3A
	v_add_f32_e32 v224, v224, v192                             // 000000012424: 03C181E0
	v_add_f32_e32 v225, v225, v193                             // 000000012428: 03C383E1
	v_add_f32_e32 v226, v226, v194                             // 00000001242C: 03C585E2
	v_add_f32_e32 v227, v227, v195                             // 000000012430: 03C787E3
	v_add_f32_e32 v228, v228, v196                             // 000000012434: 03C989E4
	v_add_f32_e32 v229, v229, v197                             // 000000012438: 03CB8BE5
	v_add_f32_e32 v230, v230, v198                             // 00000001243C: 03CD8DE6
	v_add_f32_e32 v231, v231, v199                             // 000000012440: 03CF8FE7
	ds_write_b32 v11, v47 offset:16896                         // 000000012444: D81A4200 00002F0B
	s_waitcnt lgkmcnt(0)                                       // 00000001244C: BF8CC07F
	s_barrier                                                  // 000000012450: BF8A0000
	ds_read_b32 v80, v10 offset:16896                          // 000000012454: D86C4200 5000000A
	ds_read_b32 v81, v10 offset:16960                          // 00000001245C: D86C4240 5100000A
	ds_read_b32 v82, v10 offset:17024                          // 000000012464: D86C4280 5200000A
	ds_read_b32 v83, v10 offset:17088                          // 00000001246C: D86C42C0 5300000A
	ds_read_b32 v84, v10 offset:17152                          // 000000012474: D86C4300 5400000A
	ds_read_b32 v85, v10 offset:17216                          // 00000001247C: D86C4340 5500000A
	ds_read_b32 v86, v10 offset:17280                          // 000000012484: D86C4380 5600000A
	ds_read_b32 v87, v10 offset:17344                          // 00000001248C: D86C43C0 5700000A
	ds_read_b32 v88, v10 offset:17408                          // 000000012494: D86C4400 5800000A
	ds_read_b32 v89, v10 offset:17472                          // 00000001249C: D86C4440 5900000A
	ds_read_b32 v90, v10 offset:17536                          // 0000000124A4: D86C4480 5A00000A
	ds_read_b32 v91, v10 offset:17600                          // 0000000124AC: D86C44C0 5B00000A
	ds_read_b32 v92, v10 offset:17664                          // 0000000124B4: D86C4500 5C00000A
	ds_read_b32 v93, v10 offset:17728                          // 0000000124BC: D86C4540 5D00000A
	ds_read_b32 v94, v10 offset:17792                          // 0000000124C4: D86C4580 5E00000A
	ds_read_b32 v95, v10 offset:17856                          // 0000000124CC: D86C45C0 5F00000A
	s_waitcnt lgkmcnt(0)                                       // 0000000124D4: BF8CC07F
	v_mov_b32_e32 v47, 0                                       // 0000000124D8: 7E5E0280
	v_add_f32_e32 v47, v80, v47                                // 0000000124DC: 025E5F50
	v_add_f32_e32 v47, v81, v47                                // 0000000124E0: 025E5F51
	v_add_f32_e32 v47, v82, v47                                // 0000000124E4: 025E5F52
	v_add_f32_e32 v47, v83, v47                                // 0000000124E8: 025E5F53
	v_add_f32_e32 v47, v84, v47                                // 0000000124EC: 025E5F54
	v_add_f32_e32 v47, v85, v47                                // 0000000124F0: 025E5F55
	v_add_f32_e32 v47, v86, v47                                // 0000000124F4: 025E5F56
	v_add_f32_e32 v47, v87, v47                                // 0000000124F8: 025E5F57
	v_add_f32_e32 v47, v88, v47                                // 0000000124FC: 025E5F58
	v_add_f32_e32 v47, v89, v47                                // 000000012500: 025E5F59
	v_add_f32_e32 v47, v90, v47                                // 000000012504: 025E5F5A
	v_add_f32_e32 v47, v91, v47                                // 000000012508: 025E5F5B
	v_add_f32_e32 v47, v92, v47                                // 00000001250C: 025E5F5C
	v_add_f32_e32 v47, v93, v47                                // 000000012510: 025E5F5D
	v_add_f32_e32 v47, v94, v47                                // 000000012514: 025E5F5E
	v_add_f32_e32 v47, v95, v47                                // 000000012518: 025E5F5F
	s_nop 1                                                    // 00000001251C: BF800001
	v_rcp_f32_e32 v47, v47                                     // 000000012520: 7E5E452F
	s_nop 1                                                    // 000000012524: BF800001
	v_mul_f32_e32 v224, v47, v224                              // 000000012528: 0BC1C12F
	v_mul_f32_e32 v225, v47, v225                              // 00000001252C: 0BC3C32F
	v_mul_f32_e32 v226, v47, v226                              // 000000012530: 0BC5C52F
	v_mul_f32_e32 v227, v47, v227                              // 000000012534: 0BC7C72F
	v_mul_f32_e32 v228, v47, v228                              // 000000012538: 0BC9C92F
	v_mul_f32_e32 v229, v47, v229                              // 00000001253C: 0BCBCB2F
	v_mul_f32_e32 v230, v47, v230                              // 000000012540: 0BCDCD2F
	v_mul_f32_e32 v231, v47, v231                              // 000000012544: 0BCFCF2F
	v_cvt_pkrtz_f16_f32 v41, v224, v225                        // 000000012548: D2960029 0003C3E0
	v_mov_b32_e32 v224, v41                                    // 000000012550: 7FC00329
	v_cvt_pkrtz_f16_f32 v41, v226, v227                        // 000000012554: D2960029 0003C7E2
	v_mov_b32_e32 v225, v41                                    // 00000001255C: 7FC20329
	v_cvt_pkrtz_f16_f32 v41, v228, v229                        // 000000012560: D2960029 0003CBE4
	v_mov_b32_e32 v226, v41                                    // 000000012568: 7FC40329
	v_cvt_pkrtz_f16_f32 v41, v230, v231                        // 00000001256C: D2960029 0003CFE6
	v_mov_b32_e32 v227, v41                                    // 000000012574: 7FC60329
	s_nop 1                                                    // 000000012578: BF800001
	v_lshrrev_b32_e32 v41, 4, v0                               // 00000001257C: 20520084
	v_mul_i32_i24_e32 v45, 34, v41                             // 000000012580: 0C5A52A2
	v_and_b32_e32 v41, 15, v0                                  // 000000012584: 2652008F
	v_mul_i32_i24_e32 v42, 2, v41                              // 000000012588: 0C545282
	v_add_u32_e32 v45, v42, v45                                // 00000001258C: 685A5B2A
	s_mul_i32 s60, s7, 0x88                                    // 000000012590: 923CFF07 00000088
	v_add_u32_e32 v45, s60, v45                                // 000000012598: 685A5A3C
	v_lshlrev_b32_e32 v45, 2, v45                              // 00000001259C: 245A5A82
	ds_write_b64 v45, v[224:225] offset:41472                  // 0000000125A0: D89AA200 0000E02D
	ds_write_b64 v45, v[226:227] offset:43648                  // 0000000125A8: D89AAA80 0000E22D
	v_lshrrev_b32_e32 v41, 1, v0                               // 0000000125B0: 20520081
	v_mul_i32_i24_e32 v45, 34, v41                             // 0000000125B4: 0C5A52A2
	v_and_b32_e32 v42, 1, v0                                   // 0000000125B8: 26540081
	v_add_u32_e32 v45, v42, v45                                // 0000000125BC: 685A5B2A
	s_mul_i32 s60, s7, 2                                       // 0000000125C0: 923C8207
	v_add_u32_e32 v45, s60, v45                                // 0000000125C4: 685A5A3C
	v_lshlrev_b32_e32 v45, 2, v45                              // 0000000125C8: 245A5A82
	s_waitcnt lgkmcnt(0)                                       // 0000000125CC: BF8CC07F
	s_barrier                                                  // 0000000125D0: BF8A0000
	ds_read_b32 v224, v45 offset:41472                         // 0000000125D4: D86CA200 E000002D
	ds_read_b32 v225, v45 offset:41504                         // 0000000125DC: D86CA220 E100002D
	ds_read_b32 v226, v45 offset:41536                         // 0000000125E4: D86CA240 E200002D
	ds_read_b32 v227, v45 offset:41568                         // 0000000125EC: D86CA260 E300002D
	s_mul_i32 s60, s7, 0x100                                   // 0000000125F4: 923CFF07 00000100
	v_lshlrev_b32_e32 v41, 2, v0                               // 0000000125FC: 24520082
	v_add_u32_e64 v41, v41, s60                                // 000000012600: D1340029 00007929
	s_waitcnt lgkmcnt(0)                                       // 000000012608: BF8CC07F
	buffer_store_dword v224, v41, s[8:11], 0 offen             // 00000001260C: E0701000 8002E029
	buffer_store_dword v225, v41, s[8:11], 0 offen offset:1024 // 000000012614: E0701400 8002E129
	s_add_u32 s8, s75, s8                                      // 00000001261C: 8008084B
	s_addc_u32 s9, 0, s9                                       // 000000012620: 82090980
	buffer_store_dword v226, v41, s[8:11], 0 offen             // 000000012624: E0701000 8002E229
	buffer_store_dword v227, v41, s[8:11], 0 offen offset:1024 // 00000001262C: E0701400 8002E329
	s_add_u32 s8, s75, s8                                      // 000000012634: 8008084B
	s_addc_u32 s9, 0, s9                                       // 000000012638: 82090980
	v_mul_f32_e32 v232, v64, v232                              // 00000001263C: 0BD1D140
	v_mul_f32_e32 v233, v64, v233                              // 000000012640: 0BD3D340
	v_mul_f32_e32 v234, v64, v234                              // 000000012644: 0BD5D540
	v_mul_f32_e32 v235, v64, v235                              // 000000012648: 0BD7D740
	v_mul_f32_e32 v236, v64, v236                              // 00000001264C: 0BD9D940
	v_mul_f32_e32 v237, v64, v237                              // 000000012650: 0BDBDB40
	v_mul_f32_e32 v238, v64, v238                              // 000000012654: 0BDDDD40
	v_mul_f32_e32 v239, v64, v239                              // 000000012658: 0BDFDF40
	v_cvt_f32_i32_e32 v200, v200                               // 00000001265C: 7F900BC8
	v_cvt_f32_i32_e32 v201, v201                               // 000000012660: 7F920BC9
	v_cvt_f32_i32_e32 v202, v202                               // 000000012664: 7F940BCA
	v_cvt_f32_i32_e32 v203, v203                               // 000000012668: 7F960BCB
	v_cvt_f32_i32_e32 v204, v204                               // 00000001266C: 7F980BCC
	v_cvt_f32_i32_e32 v205, v205                               // 000000012670: 7F9A0BCD
	v_cvt_f32_i32_e32 v206, v206                               // 000000012674: 7F9C0BCE
	v_cvt_f32_i32_e32 v207, v207                               // 000000012678: 7F9E0BCF
	v_mul_f32_e32 v200, v59, v200                              // 00000001267C: 0B91913B
	v_mul_f32_e32 v201, v59, v201                              // 000000012680: 0B93933B
	v_mul_f32_e32 v202, v59, v202                              // 000000012684: 0B95953B
	v_mul_f32_e32 v203, v59, v203                              // 000000012688: 0B97973B
	v_mul_f32_e32 v204, v59, v204                              // 00000001268C: 0B99993B
	v_mul_f32_e32 v205, v59, v205                              // 000000012690: 0B9B9B3B
	v_mul_f32_e32 v206, v59, v206                              // 000000012694: 0B9D9D3B
	v_mul_f32_e32 v207, v59, v207                              // 000000012698: 0B9F9F3B
	v_add_f32_e32 v232, v232, v200                             // 00000001269C: 03D191E8
	v_add_f32_e32 v233, v233, v201                             // 0000000126A0: 03D393E9
	v_add_f32_e32 v234, v234, v202                             // 0000000126A4: 03D595EA
	v_add_f32_e32 v235, v235, v203                             // 0000000126A8: 03D797EB
	v_add_f32_e32 v236, v236, v204                             // 0000000126AC: 03D999EC
	v_add_f32_e32 v237, v237, v205                             // 0000000126B0: 03DB9BED
	v_add_f32_e32 v238, v238, v206                             // 0000000126B4: 03DD9DEE
	v_add_f32_e32 v239, v239, v207                             // 0000000126B8: 03DF9FEF
	ds_write_b32 v11, v48 offset:16896                         // 0000000126BC: D81A4200 0000300B
	s_waitcnt lgkmcnt(0)                                       // 0000000126C4: BF8CC07F
	s_barrier                                                  // 0000000126C8: BF8A0000
	ds_read_b32 v80, v10 offset:16896                          // 0000000126CC: D86C4200 5000000A
	ds_read_b32 v81, v10 offset:16960                          // 0000000126D4: D86C4240 5100000A
	ds_read_b32 v82, v10 offset:17024                          // 0000000126DC: D86C4280 5200000A
	ds_read_b32 v83, v10 offset:17088                          // 0000000126E4: D86C42C0 5300000A
	ds_read_b32 v84, v10 offset:17152                          // 0000000126EC: D86C4300 5400000A
	ds_read_b32 v85, v10 offset:17216                          // 0000000126F4: D86C4340 5500000A
	ds_read_b32 v86, v10 offset:17280                          // 0000000126FC: D86C4380 5600000A
	ds_read_b32 v87, v10 offset:17344                          // 000000012704: D86C43C0 5700000A
	ds_read_b32 v88, v10 offset:17408                          // 00000001270C: D86C4400 5800000A
	ds_read_b32 v89, v10 offset:17472                          // 000000012714: D86C4440 5900000A
	ds_read_b32 v90, v10 offset:17536                          // 00000001271C: D86C4480 5A00000A
	ds_read_b32 v91, v10 offset:17600                          // 000000012724: D86C44C0 5B00000A
	ds_read_b32 v92, v10 offset:17664                          // 00000001272C: D86C4500 5C00000A
	ds_read_b32 v93, v10 offset:17728                          // 000000012734: D86C4540 5D00000A
	ds_read_b32 v94, v10 offset:17792                          // 00000001273C: D86C4580 5E00000A
	ds_read_b32 v95, v10 offset:17856                          // 000000012744: D86C45C0 5F00000A
	s_waitcnt lgkmcnt(0)                                       // 00000001274C: BF8CC07F
	v_mov_b32_e32 v48, 0                                       // 000000012750: 7E600280
	v_add_f32_e32 v48, v80, v48                                // 000000012754: 02606150
	v_add_f32_e32 v48, v81, v48                                // 000000012758: 02606151
	v_add_f32_e32 v48, v82, v48                                // 00000001275C: 02606152
	v_add_f32_e32 v48, v83, v48                                // 000000012760: 02606153
	v_add_f32_e32 v48, v84, v48                                // 000000012764: 02606154
	;; [unrolled: 1-line block ×3, first 2 shown]
	v_add_f32_e32 v48, v86, v48                                // 00000001276C: 02606156
	v_add_f32_e32 v48, v87, v48                                // 000000012770: 02606157
	v_add_f32_e32 v48, v88, v48                                // 000000012774: 02606158
	;; [unrolled: 1-line block ×3, first 2 shown]
	v_add_f32_e32 v48, v90, v48                                // 00000001277C: 0260615A
	v_add_f32_e32 v48, v91, v48                                // 000000012780: 0260615B
	v_add_f32_e32 v48, v92, v48                                // 000000012784: 0260615C
	v_add_f32_e32 v48, v93, v48                                // 000000012788: 0260615D
	v_add_f32_e32 v48, v94, v48                                // 00000001278C: 0260615E
	v_add_f32_e32 v48, v95, v48                                // 000000012790: 0260615F
	s_nop 1                                                    // 000000012794: BF800001
	v_rcp_f32_e32 v48, v48                                     // 000000012798: 7E604530
	s_nop 1                                                    // 00000001279C: BF800001
	v_mul_f32_e32 v232, v48, v232                              // 0000000127A0: 0BD1D130
	v_mul_f32_e32 v233, v48, v233                              // 0000000127A4: 0BD3D330
	v_mul_f32_e32 v234, v48, v234                              // 0000000127A8: 0BD5D530
	v_mul_f32_e32 v235, v48, v235                              // 0000000127AC: 0BD7D730
	v_mul_f32_e32 v236, v48, v236                              // 0000000127B0: 0BD9D930
	v_mul_f32_e32 v237, v48, v237                              // 0000000127B4: 0BDBDB30
	v_mul_f32_e32 v238, v48, v238                              // 0000000127B8: 0BDDDD30
	v_mul_f32_e32 v239, v48, v239                              // 0000000127BC: 0BDFDF30
	v_cvt_pkrtz_f16_f32 v41, v232, v233                        // 0000000127C0: D2960029 0003D3E8
	v_mov_b32_e32 v232, v41                                    // 0000000127C8: 7FD00329
	v_cvt_pkrtz_f16_f32 v41, v234, v235                        // 0000000127CC: D2960029 0003D7EA
	v_mov_b32_e32 v233, v41                                    // 0000000127D4: 7FD20329
	v_cvt_pkrtz_f16_f32 v41, v236, v237                        // 0000000127D8: D2960029 0003DBEC
	v_mov_b32_e32 v234, v41                                    // 0000000127E0: 7FD40329
	v_cvt_pkrtz_f16_f32 v41, v238, v239                        // 0000000127E4: D2960029 0003DFEE
	v_mov_b32_e32 v235, v41                                    // 0000000127EC: 7FD60329
	s_nop 1                                                    // 0000000127F0: BF800001
	v_lshrrev_b32_e32 v41, 4, v0                               // 0000000127F4: 20520084
	v_mul_i32_i24_e32 v45, 34, v41                             // 0000000127F8: 0C5A52A2
	v_and_b32_e32 v41, 15, v0                                  // 0000000127FC: 2652008F
	v_mul_i32_i24_e32 v42, 2, v41                              // 000000012800: 0C545282
	v_add_u32_e32 v45, v42, v45                                // 000000012804: 685A5B2A
	s_mul_i32 s60, s7, 0x88                                    // 000000012808: 923CFF07 00000088
	v_add_u32_e32 v45, s60, v45                                // 000000012810: 685A5A3C
	v_lshlrev_b32_e32 v45, 2, v45                              // 000000012814: 245A5A82
	ds_write_b64 v45, v[232:233] offset:41472                  // 000000012818: D89AA200 0000E82D
	ds_write_b64 v45, v[234:235] offset:43648                  // 000000012820: D89AAA80 0000EA2D
	v_lshrrev_b32_e32 v41, 1, v0                               // 000000012828: 20520081
	v_mul_i32_i24_e32 v45, 34, v41                             // 00000001282C: 0C5A52A2
	v_and_b32_e32 v42, 1, v0                                   // 000000012830: 26540081
	v_add_u32_e32 v45, v42, v45                                // 000000012834: 685A5B2A
	s_mul_i32 s60, s7, 2                                       // 000000012838: 923C8207
	v_add_u32_e32 v45, s60, v45                                // 00000001283C: 685A5A3C
	v_lshlrev_b32_e32 v45, 2, v45                              // 000000012840: 245A5A82
	s_waitcnt lgkmcnt(0)                                       // 000000012844: BF8CC07F
	s_barrier                                                  // 000000012848: BF8A0000
	ds_read_b32 v232, v45 offset:41472                         // 00000001284C: D86CA200 E800002D
	ds_read_b32 v233, v45 offset:41504                         // 000000012854: D86CA220 E900002D
	s_mul_i32 s60, s7, 0x100                                   // 00000001285C: 923CFF07 00000100
	v_lshlrev_b32_e32 v41, 2, v0                               // 000000012864: 24520082
	v_add_u32_e64 v41, v41, s60                                // 000000012868: D1340029 00007929
	s_waitcnt lgkmcnt(0)                                       // 000000012870: BF8CC07F
	buffer_store_dword v232, v41, s[8:11], 0 offen             // 000000012874: E0701000 8002E829
	buffer_store_dword v233, v41, s[8:11], 0 offen offset:1024 // 00000001287C: E0701400 8002E929
	s_add_u32 s8, s75, s8                                      // 000000012884: 8008084B
	s_addc_u32 s9, 0, s9                                       // 000000012888: 82090980
	s_branch label_41A4                                        // 00000001288C: BF820000

0000000000012890 <label_41A4>:
	s_waitcnt vmcnt(0) expcnt(0) lgkmcnt(0)                    // 000000012890: BF8C0000
	s_endpgm                                                   // 000000012894: BF810000
